;; amdgpu-corpus repo=ROCm/rocFFT kind=compiled arch=gfx906 opt=O3
	.text
	.amdgcn_target "amdgcn-amd-amdhsa--gfx906"
	.amdhsa_code_object_version 6
	.protected	fft_rtc_back_len1078_factors_2_11_7_7_wgs_231_tpt_77_halfLds_dp_op_CI_CI_unitstride_sbrr_R2C_dirReg ; -- Begin function fft_rtc_back_len1078_factors_2_11_7_7_wgs_231_tpt_77_halfLds_dp_op_CI_CI_unitstride_sbrr_R2C_dirReg
	.globl	fft_rtc_back_len1078_factors_2_11_7_7_wgs_231_tpt_77_halfLds_dp_op_CI_CI_unitstride_sbrr_R2C_dirReg
	.p2align	8
	.type	fft_rtc_back_len1078_factors_2_11_7_7_wgs_231_tpt_77_halfLds_dp_op_CI_CI_unitstride_sbrr_R2C_dirReg,@function
fft_rtc_back_len1078_factors_2_11_7_7_wgs_231_tpt_77_halfLds_dp_op_CI_CI_unitstride_sbrr_R2C_dirReg: ; @fft_rtc_back_len1078_factors_2_11_7_7_wgs_231_tpt_77_halfLds_dp_op_CI_CI_unitstride_sbrr_R2C_dirReg
; %bb.0:
	s_load_dwordx4 s[8:11], s[4:5], 0x58
	s_load_dwordx4 s[12:15], s[4:5], 0x0
	;; [unrolled: 1-line block ×3, first 2 shown]
	v_mul_u32_u24_e32 v1, 0x354, v0
	v_lshrrev_b32_e32 v1, 16, v1
	v_mad_u64_u32 v[3:4], s[0:1], s6, 3, v[1:2]
	v_mov_b32_e32 v5, 0
	v_mov_b32_e32 v1, 0
	;; [unrolled: 1-line block ×3, first 2 shown]
	s_waitcnt lgkmcnt(0)
	v_cmp_lt_u64_e64 s[0:1], s[14:15], 2
	v_mov_b32_e32 v2, 0
	v_mov_b32_e32 v89, v2
	;; [unrolled: 1-line block ×3, first 2 shown]
	s_and_b64 vcc, exec, s[0:1]
	v_mov_b32_e32 v88, v1
	v_mov_b32_e32 v92, v3
	s_cbranch_vccnz .LBB0_8
; %bb.1:
	s_load_dwordx2 s[0:1], s[4:5], 0x10
	s_add_u32 s2, s18, 8
	s_addc_u32 s3, s19, 0
	s_add_u32 s6, s16, 8
	v_mov_b32_e32 v1, 0
	s_addc_u32 s7, s17, 0
	v_mov_b32_e32 v2, 0
	s_waitcnt lgkmcnt(0)
	s_add_u32 s20, s0, 8
	v_mov_b32_e32 v89, v2
	v_mov_b32_e32 v8, v4
	s_addc_u32 s21, s1, 0
	s_mov_b64 s[22:23], 1
	v_mov_b32_e32 v88, v1
	v_mov_b32_e32 v7, v3
.LBB0_2:                                ; =>This Inner Loop Header: Depth=1
	s_load_dwordx2 s[24:25], s[20:21], 0x0
                                        ; implicit-def: $vgpr92_vgpr93
	s_waitcnt lgkmcnt(0)
	v_or_b32_e32 v6, s25, v8
	v_cmp_ne_u64_e32 vcc, 0, v[5:6]
	s_and_saveexec_b64 s[0:1], vcc
	s_xor_b64 s[26:27], exec, s[0:1]
	s_cbranch_execz .LBB0_4
; %bb.3:                                ;   in Loop: Header=BB0_2 Depth=1
	v_cvt_f32_u32_e32 v4, s24
	v_cvt_f32_u32_e32 v6, s25
	s_sub_u32 s0, 0, s24
	s_subb_u32 s1, 0, s25
	v_mac_f32_e32 v4, 0x4f800000, v6
	v_rcp_f32_e32 v4, v4
	v_mul_f32_e32 v4, 0x5f7ffffc, v4
	v_mul_f32_e32 v6, 0x2f800000, v4
	v_trunc_f32_e32 v6, v6
	v_mac_f32_e32 v4, 0xcf800000, v6
	v_cvt_u32_f32_e32 v6, v6
	v_cvt_u32_f32_e32 v4, v4
	v_mul_lo_u32 v9, s0, v6
	v_mul_hi_u32 v10, s0, v4
	v_mul_lo_u32 v12, s1, v4
	v_mul_lo_u32 v11, s0, v4
	v_add_u32_e32 v9, v10, v9
	v_add_u32_e32 v9, v9, v12
	v_mul_hi_u32 v10, v4, v11
	v_mul_lo_u32 v12, v4, v9
	v_mul_hi_u32 v14, v4, v9
	v_mul_hi_u32 v13, v6, v11
	v_mul_lo_u32 v11, v6, v11
	v_mul_hi_u32 v15, v6, v9
	v_add_co_u32_e32 v10, vcc, v10, v12
	v_addc_co_u32_e32 v12, vcc, 0, v14, vcc
	v_mul_lo_u32 v9, v6, v9
	v_add_co_u32_e32 v10, vcc, v10, v11
	v_addc_co_u32_e32 v10, vcc, v12, v13, vcc
	v_addc_co_u32_e32 v11, vcc, 0, v15, vcc
	v_add_co_u32_e32 v9, vcc, v10, v9
	v_addc_co_u32_e32 v10, vcc, 0, v11, vcc
	v_add_co_u32_e32 v4, vcc, v4, v9
	v_addc_co_u32_e32 v6, vcc, v6, v10, vcc
	v_mul_lo_u32 v9, s0, v6
	v_mul_hi_u32 v10, s0, v4
	v_mul_lo_u32 v11, s1, v4
	v_mul_lo_u32 v12, s0, v4
	v_add_u32_e32 v9, v10, v9
	v_add_u32_e32 v9, v9, v11
	v_mul_lo_u32 v13, v4, v9
	v_mul_hi_u32 v14, v4, v12
	v_mul_hi_u32 v15, v4, v9
	;; [unrolled: 1-line block ×3, first 2 shown]
	v_mul_lo_u32 v12, v6, v12
	v_mul_hi_u32 v10, v6, v9
	v_add_co_u32_e32 v13, vcc, v14, v13
	v_addc_co_u32_e32 v14, vcc, 0, v15, vcc
	v_mul_lo_u32 v9, v6, v9
	v_add_co_u32_e32 v12, vcc, v13, v12
	v_addc_co_u32_e32 v11, vcc, v14, v11, vcc
	v_addc_co_u32_e32 v10, vcc, 0, v10, vcc
	v_add_co_u32_e32 v9, vcc, v11, v9
	v_addc_co_u32_e32 v10, vcc, 0, v10, vcc
	v_add_co_u32_e32 v4, vcc, v4, v9
	v_addc_co_u32_e32 v6, vcc, v6, v10, vcc
	v_mad_u64_u32 v[9:10], s[0:1], v7, v6, 0
	v_mul_hi_u32 v11, v7, v4
	v_add_co_u32_e32 v13, vcc, v11, v9
	v_addc_co_u32_e32 v14, vcc, 0, v10, vcc
	v_mad_u64_u32 v[9:10], s[0:1], v8, v4, 0
	v_mad_u64_u32 v[11:12], s[0:1], v8, v6, 0
	v_add_co_u32_e32 v4, vcc, v13, v9
	v_addc_co_u32_e32 v4, vcc, v14, v10, vcc
	v_addc_co_u32_e32 v6, vcc, 0, v12, vcc
	v_add_co_u32_e32 v4, vcc, v4, v11
	v_addc_co_u32_e32 v6, vcc, 0, v6, vcc
	v_mul_lo_u32 v11, s25, v4
	v_mul_lo_u32 v12, s24, v6
	v_mad_u64_u32 v[9:10], s[0:1], s24, v4, 0
	v_add3_u32 v10, v10, v12, v11
	v_sub_u32_e32 v11, v8, v10
	v_mov_b32_e32 v12, s25
	v_sub_co_u32_e32 v9, vcc, v7, v9
	v_subb_co_u32_e64 v11, s[0:1], v11, v12, vcc
	v_subrev_co_u32_e64 v12, s[0:1], s24, v9
	v_subbrev_co_u32_e64 v11, s[0:1], 0, v11, s[0:1]
	v_cmp_le_u32_e64 s[0:1], s25, v11
	v_cndmask_b32_e64 v13, 0, -1, s[0:1]
	v_cmp_le_u32_e64 s[0:1], s24, v12
	v_cndmask_b32_e64 v12, 0, -1, s[0:1]
	v_cmp_eq_u32_e64 s[0:1], s25, v11
	v_cndmask_b32_e64 v11, v13, v12, s[0:1]
	v_add_co_u32_e64 v12, s[0:1], 2, v4
	v_addc_co_u32_e64 v13, s[0:1], 0, v6, s[0:1]
	v_add_co_u32_e64 v14, s[0:1], 1, v4
	v_addc_co_u32_e64 v15, s[0:1], 0, v6, s[0:1]
	v_subb_co_u32_e32 v10, vcc, v8, v10, vcc
	v_cmp_ne_u32_e64 s[0:1], 0, v11
	v_cmp_le_u32_e32 vcc, s25, v10
	v_cndmask_b32_e64 v11, v15, v13, s[0:1]
	v_cndmask_b32_e64 v13, 0, -1, vcc
	v_cmp_le_u32_e32 vcc, s24, v9
	v_cndmask_b32_e64 v9, 0, -1, vcc
	v_cmp_eq_u32_e32 vcc, s25, v10
	v_cndmask_b32_e32 v9, v13, v9, vcc
	v_cmp_ne_u32_e32 vcc, 0, v9
	v_cndmask_b32_e32 v93, v6, v11, vcc
	v_cndmask_b32_e64 v6, v14, v12, s[0:1]
	v_cndmask_b32_e32 v92, v4, v6, vcc
.LBB0_4:                                ;   in Loop: Header=BB0_2 Depth=1
	s_andn2_saveexec_b64 s[0:1], s[26:27]
	s_cbranch_execz .LBB0_6
; %bb.5:                                ;   in Loop: Header=BB0_2 Depth=1
	v_cvt_f32_u32_e32 v4, s24
	s_sub_i32 s26, 0, s24
	v_mov_b32_e32 v93, v5
	v_rcp_iflag_f32_e32 v4, v4
	v_mul_f32_e32 v4, 0x4f7ffffe, v4
	v_cvt_u32_f32_e32 v4, v4
	v_mul_lo_u32 v6, s26, v4
	v_mul_hi_u32 v6, v4, v6
	v_add_u32_e32 v4, v4, v6
	v_mul_hi_u32 v4, v7, v4
	v_mul_lo_u32 v6, v4, s24
	v_add_u32_e32 v9, 1, v4
	v_sub_u32_e32 v6, v7, v6
	v_subrev_u32_e32 v10, s24, v6
	v_cmp_le_u32_e32 vcc, s24, v6
	v_cndmask_b32_e32 v6, v6, v10, vcc
	v_cndmask_b32_e32 v4, v4, v9, vcc
	v_add_u32_e32 v9, 1, v4
	v_cmp_le_u32_e32 vcc, s24, v6
	v_cndmask_b32_e32 v92, v4, v9, vcc
.LBB0_6:                                ;   in Loop: Header=BB0_2 Depth=1
	s_or_b64 exec, exec, s[0:1]
	v_mul_lo_u32 v4, v93, s24
	v_mul_lo_u32 v6, v92, s25
	v_mad_u64_u32 v[9:10], s[0:1], v92, s24, 0
	s_load_dwordx2 s[0:1], s[6:7], 0x0
	s_load_dwordx2 s[24:25], s[2:3], 0x0
	v_add3_u32 v4, v10, v6, v4
	v_sub_co_u32_e32 v6, vcc, v7, v9
	v_subb_co_u32_e32 v4, vcc, v8, v4, vcc
	s_waitcnt lgkmcnt(0)
	v_mul_lo_u32 v7, s0, v4
	v_mul_lo_u32 v8, s1, v6
	v_mad_u64_u32 v[1:2], s[0:1], s0, v6, v[1:2]
	s_add_u32 s22, s22, 1
	s_addc_u32 s23, s23, 0
	s_add_u32 s2, s2, 8
	v_mul_lo_u32 v4, s24, v4
	v_mul_lo_u32 v9, s25, v6
	v_mad_u64_u32 v[88:89], s[0:1], s24, v6, v[88:89]
	v_add3_u32 v2, v8, v2, v7
	s_addc_u32 s3, s3, 0
	v_mov_b32_e32 v6, s14
	s_add_u32 s6, s6, 8
	v_mov_b32_e32 v7, s15
	s_addc_u32 s7, s7, 0
	v_cmp_ge_u64_e32 vcc, s[22:23], v[6:7]
	s_add_u32 s20, s20, 8
	v_add3_u32 v89, v9, v89, v4
	s_addc_u32 s21, s21, 0
	s_cbranch_vccnz .LBB0_8
; %bb.7:                                ;   in Loop: Header=BB0_2 Depth=1
	v_mov_b32_e32 v7, v92
	v_mov_b32_e32 v8, v93
	s_branch .LBB0_2
.LBB0_8:
	s_mov_b32 s0, 0xaaaaaaab
	s_load_dwordx2 s[4:5], s[4:5], 0x28
	v_mul_hi_u32 v4, v3, s0
	s_lshl_b64 s[6:7], s[14:15], 3
	s_add_u32 s2, s18, s6
	s_addc_u32 s3, s19, s7
	v_lshrrev_b32_e32 v4, 1, v4
	v_lshl_add_u32 v4, v4, 1, v4
	s_waitcnt lgkmcnt(0)
	v_cmp_gt_u64_e64 s[0:1], s[4:5], v[92:93]
	v_cmp_le_u64_e32 vcc, s[4:5], v[92:93]
	v_sub_u32_e32 v3, v3, v4
                                        ; implicit-def: $vgpr90
                                        ; implicit-def: $vgpr94
                                        ; implicit-def: $vgpr98
                                        ; implicit-def: $vgpr97
                                        ; implicit-def: $vgpr96
	s_and_saveexec_b64 s[4:5], vcc
	s_xor_b64 s[4:5], exec, s[4:5]
; %bb.9:
	s_mov_b32 s14, 0x3531ded
	v_mul_hi_u32 v1, v0, s14
	v_mul_u32_u24_e32 v1, 0x4d, v1
	v_sub_u32_e32 v90, v0, v1
	v_add_u32_e32 v94, 0x4d, v90
	v_add_u32_e32 v98, 0x9a, v90
	;; [unrolled: 1-line block ×4, first 2 shown]
                                        ; implicit-def: $vgpr0
                                        ; implicit-def: $vgpr1_vgpr2
; %bb.10:
	s_or_saveexec_b64 s[4:5], s[4:5]
	v_mul_u32_u24_e32 v3, 0x437, v3
	v_lshlrev_b32_e32 v99, 4, v3
	s_xor_b64 exec, exec, s[4:5]
	s_cbranch_execz .LBB0_12
; %bb.11:
	s_add_u32 s6, s16, s6
	s_addc_u32 s7, s17, s7
	s_load_dwordx2 s[6:7], s[6:7], 0x0
	s_mov_b32 s14, 0x3531ded
	v_mul_hi_u32 v5, v0, s14
	s_waitcnt lgkmcnt(0)
	v_mul_lo_u32 v6, s7, v92
	v_mul_lo_u32 v7, s6, v93
	v_mad_u64_u32 v[3:4], s[6:7], s6, v92, 0
	v_mul_u32_u24_e32 v5, 0x4d, v5
	v_sub_u32_e32 v90, v0, v5
	v_add3_u32 v4, v4, v7, v6
	v_lshlrev_b64 v[3:4], 4, v[3:4]
	v_mov_b32_e32 v0, s9
	v_add_co_u32_e32 v3, vcc, s8, v3
	v_addc_co_u32_e32 v4, vcc, v0, v4, vcc
	v_lshlrev_b64 v[0:1], 4, v[1:2]
	v_lshlrev_b32_e32 v60, 4, v90
	v_add_co_u32_e32 v0, vcc, v3, v0
	v_addc_co_u32_e32 v1, vcc, v4, v1, vcc
	v_add_co_u32_e32 v32, vcc, v0, v60
	v_addc_co_u32_e32 v33, vcc, 0, v1, vcc
	s_movk_i32 s6, 0x1000
	v_add_co_u32_e32 v34, vcc, s6, v32
	v_addc_co_u32_e32 v35, vcc, 0, v33, vcc
	s_movk_i32 s6, 0x2000
	v_add_co_u32_e32 v56, vcc, s6, v32
	v_addc_co_u32_e32 v57, vcc, 0, v33, vcc
	v_add_co_u32_e32 v58, vcc, 0x3000, v32
	global_load_dwordx4 v[0:3], v[32:33], off
	global_load_dwordx4 v[4:7], v[32:33], off offset:1232
	global_load_dwordx4 v[8:11], v[32:33], off offset:2464
	;; [unrolled: 1-line block ×7, first 2 shown]
	v_addc_co_u32_e32 v59, vcc, 0, v33, vcc
	global_load_dwordx4 v[32:35], v[56:57], off offset:1664
	global_load_dwordx4 v[36:39], v[56:57], off offset:2896
	;; [unrolled: 1-line block ×6, first 2 shown]
	v_add_u32_e32 v94, 0x4d, v90
	v_add_u32_e32 v98, 0x9a, v90
	;; [unrolled: 1-line block ×4, first 2 shown]
	v_add3_u32 v56, 0, v99, v60
	s_waitcnt vmcnt(13)
	ds_write_b128 v56, v[0:3]
	s_waitcnt vmcnt(12)
	ds_write_b128 v56, v[4:7] offset:1232
	s_waitcnt vmcnt(11)
	ds_write_b128 v56, v[8:11] offset:2464
	;; [unrolled: 2-line block ×13, first 2 shown]
.LBB0_12:
	s_or_b64 exec, exec, s[4:5]
	v_lshlrev_b32_e32 v91, 4, v90
	v_add_u32_e32 v100, 0, v99
	v_add3_u32 v95, 0, v91, v99
	s_load_dwordx2 s[2:3], s[2:3], 0x0
	s_waitcnt lgkmcnt(0)
	s_barrier
	v_add_u32_e32 v101, v100, v91
	ds_read_b128 v[0:3], v95 offset:8624
	ds_read_b128 v[4:7], v101
	ds_read_b128 v[8:11], v95 offset:1232
	ds_read_b128 v[12:15], v95 offset:9856
	;; [unrolled: 1-line block ×4, first 2 shown]
	s_waitcnt lgkmcnt(4)
	v_add_f64 v[0:1], v[4:5], -v[0:1]
	v_add_f64 v[2:3], v[6:7], -v[2:3]
	s_waitcnt lgkmcnt(2)
	v_add_f64 v[12:13], v[8:9], -v[12:13]
	v_add_f64 v[14:15], v[10:11], -v[14:15]
	ds_read_b128 v[24:27], v95 offset:2464
	ds_read_b128 v[28:31], v95 offset:3696
	;; [unrolled: 1-line block ×6, first 2 shown]
	s_waitcnt lgkmcnt(5)
	v_add_f64 v[20:21], v[24:25], -v[20:21]
	v_add_f64 v[22:23], v[26:27], -v[22:23]
	v_lshl_add_u32 v56, v90, 5, v100
	v_fma_f64 v[4:5], v[4:5], 2.0, -v[0:1]
	v_fma_f64 v[6:7], v[6:7], 2.0, -v[2:3]
	;; [unrolled: 1-line block ×4, first 2 shown]
	ds_read_b128 v[48:51], v95 offset:14784
	ds_read_b128 v[52:55], v95 offset:16016
	s_waitcnt lgkmcnt(0)
	s_barrier
	ds_write_b128 v56, v[0:3] offset:16
	ds_write_b128 v56, v[4:7]
	v_fma_f64 v[4:5], v[24:25], 2.0, -v[20:21]
	v_fma_f64 v[6:7], v[26:27], 2.0, -v[22:23]
	v_add_f64 v[24:25], v[28:29], -v[32:33]
	v_add_f64 v[26:27], v[30:31], -v[34:35]
	v_lshl_add_u32 v0, v94, 5, v100
	ds_write_b128 v0, v[8:11]
	ds_write_b128 v0, v[12:15] offset:16
	v_lshl_add_u32 v32, v98, 5, v100
	v_add_f64 v[12:13], v[40:41], -v[36:37]
	v_add_f64 v[14:15], v[42:43], -v[38:39]
	ds_write_b128 v32, v[4:7]
	v_fma_f64 v[4:5], v[28:29], 2.0, -v[24:25]
	v_fma_f64 v[6:7], v[30:31], 2.0, -v[26:27]
	v_add_f64 v[8:9], v[16:17], -v[52:53]
	v_add_f64 v[10:11], v[18:19], -v[54:55]
	;; [unrolled: 1-line block ×4, first 2 shown]
	ds_write_b128 v32, v[20:23] offset:16
	v_fma_f64 v[20:21], v[40:41], 2.0, -v[12:13]
	v_fma_f64 v[22:23], v[42:43], 2.0, -v[14:15]
	ds_write_b128 v56, v[4:7] offset:7392
	v_fma_f64 v[4:5], v[16:17], 2.0, -v[8:9]
	v_fma_f64 v[6:7], v[18:19], 2.0, -v[10:11]
	;; [unrolled: 1-line block ×4, first 2 shown]
	v_lshl_add_u32 v16, v97, 5, v100
	ds_write_b128 v56, v[24:27] offset:7408
	ds_write_b128 v16, v[20:23]
	ds_write_b128 v16, v[12:15] offset:16
	ds_write_b128 v56, v[28:31] offset:12320
	;; [unrolled: 1-line block ×3, first 2 shown]
	v_lshl_add_u32 v12, v96, 5, v100
	ds_write_b128 v12, v[4:7]
	ds_write_b128 v12, v[8:11] offset:16
	s_waitcnt lgkmcnt(0)
	s_barrier
	ds_read_b128 v[44:47], v101
	ds_read_b128 v[84:87], v95 offset:1568
	ds_read_b128 v[80:83], v95 offset:3136
	;; [unrolled: 1-line block ×10, first 2 shown]
	v_cmp_gt_u32_e32 vcc, 21, v90
	v_lshlrev_b32_e32 v102, 4, v94
                                        ; implicit-def: $vgpr42_vgpr43
                                        ; implicit-def: $vgpr38_vgpr39
                                        ; implicit-def: $vgpr34_vgpr35
                                        ; implicit-def: $vgpr30_vgpr31
                                        ; implicit-def: $vgpr26_vgpr27
                                        ; implicit-def: $vgpr22_vgpr23
                                        ; implicit-def: $vgpr18_vgpr19
                                        ; implicit-def: $vgpr14_vgpr15
	s_and_saveexec_b64 s[4:5], vcc
	s_cbranch_execz .LBB0_14
; %bb.13:
	v_add3_u32 v0, 0, v102, v99
	ds_read_b128 v[0:3], v0
	ds_read_b128 v[4:7], v95 offset:2800
	ds_read_b128 v[8:11], v95 offset:4368
	;; [unrolled: 1-line block ×10, first 2 shown]
.LBB0_14:
	s_or_b64 exec, exec, s[4:5]
	v_and_b32_e32 v103, 1, v90
	v_mul_u32_u24_e32 v104, 10, v103
	v_lshlrev_b32_e32 v140, 4, v104
	global_load_dwordx4 v[104:107], v140, s[12:13]
	global_load_dwordx4 v[108:111], v140, s[12:13] offset:16
	global_load_dwordx4 v[112:115], v140, s[12:13] offset:32
	;; [unrolled: 1-line block ×8, first 2 shown]
	s_nop 0
	global_load_dwordx4 v[140:143], v140, s[12:13] offset:144
	s_mov_b32 s6, 0xf8bb580b
	s_mov_b32 s4, 0x8764f0ba
	;; [unrolled: 1-line block ×30, first 2 shown]
	s_waitcnt vmcnt(0) lgkmcnt(0)
	s_barrier
	v_mul_f64 v[144:145], v[86:87], v[106:107]
	v_mul_f64 v[106:107], v[84:85], v[106:107]
	;; [unrolled: 1-line block ×10, first 2 shown]
	v_fma_f64 v[84:85], v[84:85], v[104:105], v[144:145]
	v_fma_f64 v[86:87], v[86:87], v[104:105], -v[106:107]
	v_fma_f64 v[80:81], v[80:81], v[108:109], v[146:147]
	v_fma_f64 v[82:83], v[82:83], v[108:109], -v[110:111]
	;; [unrolled: 2-line block ×4, first 2 shown]
	v_add_f64 v[104:105], v[44:45], v[84:85]
	v_add_f64 v[106:107], v[46:47], v[86:87]
	v_fma_f64 v[72:73], v[72:73], v[116:117], v[150:151]
	v_fma_f64 v[74:75], v[74:75], v[116:117], -v[118:119]
	v_mul_f64 v[152:153], v[70:71], v[122:123]
	v_mul_f64 v[122:123], v[68:69], v[122:123]
	v_add_f64 v[112:113], v[80:81], v[48:49]
	v_add_f64 v[114:115], v[82:83], v[50:51]
	v_add_f64 v[116:117], v[80:81], -v[48:49]
	v_add_f64 v[118:119], v[82:83], -v[50:51]
	v_add_f64 v[80:81], v[104:105], v[80:81]
	v_add_f64 v[82:83], v[106:107], v[82:83]
	v_mul_f64 v[154:155], v[62:63], v[126:127]
	v_mul_f64 v[126:127], v[60:61], v[126:127]
	v_fma_f64 v[68:69], v[68:69], v[120:121], v[152:153]
	v_fma_f64 v[70:71], v[70:71], v[120:121], -v[122:123]
	v_mul_f64 v[156:157], v[58:59], v[130:131]
	v_mul_f64 v[130:131], v[56:57], v[130:131]
	v_add_f64 v[80:81], v[80:81], v[76:77]
	v_add_f64 v[82:83], v[82:83], v[78:79]
	v_mul_f64 v[162:163], v[66:67], v[142:143]
	v_mul_f64 v[142:143], v[64:65], v[142:143]
	v_fma_f64 v[60:61], v[60:61], v[124:125], v[154:155]
	v_fma_f64 v[62:63], v[62:63], v[124:125], -v[126:127]
	v_mul_f64 v[158:159], v[54:55], v[134:135]
	v_mul_f64 v[134:135], v[52:53], v[134:135]
	v_add_f64 v[80:81], v[80:81], v[72:73]
	v_add_f64 v[82:83], v[82:83], v[74:75]
	v_fma_f64 v[56:57], v[56:57], v[128:129], v[156:157]
	v_fma_f64 v[58:59], v[58:59], v[128:129], -v[130:131]
	v_fma_f64 v[66:67], v[66:67], v[140:141], -v[142:143]
	v_fma_f64 v[64:65], v[64:65], v[140:141], v[162:163]
	v_fma_f64 v[52:53], v[52:53], v[132:133], v[158:159]
	v_fma_f64 v[54:55], v[54:55], v[132:133], -v[134:135]
	v_add_f64 v[80:81], v[80:81], v[68:69]
	v_add_f64 v[82:83], v[82:83], v[70:71]
	v_mul_f64 v[132:133], v[118:119], s[14:15]
	v_mul_f64 v[134:135], v[114:115], s[8:9]
	v_add_f64 v[110:111], v[86:87], v[66:67]
	v_add_f64 v[86:87], v[86:87], -v[66:67]
	v_add_f64 v[108:109], v[84:85], v[64:65]
	v_add_f64 v[84:85], v[84:85], -v[64:65]
	v_add_f64 v[80:81], v[80:81], v[60:61]
	v_add_f64 v[82:83], v[82:83], v[62:63]
	v_mul_f64 v[136:137], v[118:119], s[24:25]
	v_mul_f64 v[138:139], v[114:115], s[20:21]
	;; [unrolled: 1-line block ×6, first 2 shown]
	v_add_f64 v[80:81], v[80:81], v[56:57]
	v_add_f64 v[82:83], v[82:83], v[58:59]
	v_mul_f64 v[124:125], v[86:87], s[18:19]
	v_mul_f64 v[126:127], v[110:111], s[16:17]
	;; [unrolled: 1-line block ×6, first 2 shown]
	v_add_f64 v[80:81], v[80:81], v[52:53]
	v_add_f64 v[82:83], v[82:83], v[54:55]
	v_fma_f64 v[140:141], v[108:109], s[4:5], v[104:105]
	v_fma_f64 v[142:143], v[84:85], s[28:29], v[106:107]
	v_fma_f64 v[104:105], v[108:109], s[4:5], -v[104:105]
	v_fma_f64 v[106:107], v[84:85], s[6:7], v[106:107]
	v_fma_f64 v[144:145], v[108:109], s[8:9], v[120:121]
	v_fma_f64 v[146:147], v[84:85], s[36:37], v[122:123]
	v_fma_f64 v[120:121], v[108:109], s[8:9], -v[120:121]
	v_fma_f64 v[122:123], v[84:85], s[14:15], v[122:123]
	;; [unrolled: 4-line block ×5, first 2 shown]
	v_add_f64 v[48:49], v[80:81], v[48:49]
	v_add_f64 v[50:51], v[82:83], v[50:51]
	v_fma_f64 v[108:109], v[112:113], s[8:9], v[132:133]
	v_fma_f64 v[110:111], v[116:117], s[36:37], v[134:135]
	v_fma_f64 v[132:133], v[112:113], s[8:9], -v[132:133]
	v_fma_f64 v[134:135], v[116:117], s[14:15], v[134:135]
	v_add_f64 v[140:141], v[44:45], v[140:141]
	v_add_f64 v[142:143], v[46:47], v[142:143]
	;; [unrolled: 1-line block ×22, first 2 shown]
	v_mul_f64 v[50:51], v[118:119], s[34:35]
	v_mul_f64 v[64:65], v[114:115], s[22:23]
	v_fma_f64 v[160:161], v[112:113], s[20:21], v[136:137]
	v_fma_f64 v[162:163], v[116:117], s[38:39], v[138:139]
	v_add_f64 v[108:109], v[108:109], v[140:141]
	v_add_f64 v[48:49], v[110:111], v[142:143]
	;; [unrolled: 1-line block ×4, first 2 shown]
	v_fma_f64 v[132:133], v[112:113], s[20:21], -v[136:137]
	v_fma_f64 v[134:135], v[116:117], s[24:25], v[138:139]
	v_fma_f64 v[136:137], v[112:113], s[22:23], v[50:51]
	;; [unrolled: 1-line block ×3, first 2 shown]
	v_mul_f64 v[140:141], v[118:119], s[30:31]
	v_mul_f64 v[142:143], v[114:115], s[16:17]
	v_fma_f64 v[50:51], v[112:113], s[22:23], -v[50:51]
	v_fma_f64 v[64:65], v[116:117], s[34:35], v[64:65]
	v_add_f64 v[120:121], v[132:133], v[120:121]
	v_mul_f64 v[118:119], v[118:119], s[28:29]
	v_add_f64 v[132:133], v[136:137], v[148:149]
	v_mul_f64 v[114:115], v[114:115], s[4:5]
	v_fma_f64 v[136:137], v[112:113], s[16:17], v[140:141]
	v_add_f64 v[122:123], v[134:135], v[122:123]
	v_add_f64 v[50:51], v[50:51], v[124:125]
	;; [unrolled: 1-line block ×3, first 2 shown]
	v_fma_f64 v[124:125], v[112:113], s[16:17], -v[140:141]
	v_fma_f64 v[126:127], v[116:117], s[30:31], v[142:143]
	v_add_f64 v[140:141], v[78:79], -v[54:55]
	v_add_f64 v[54:55], v[78:79], v[54:55]
	v_add_f64 v[134:135], v[138:139], v[150:151]
	v_fma_f64 v[138:139], v[116:117], s[18:19], v[142:143]
	v_add_f64 v[106:107], v[160:161], v[144:145]
	v_add_f64 v[110:111], v[162:163], v[146:147]
	;; [unrolled: 1-line block ×4, first 2 shown]
	v_fma_f64 v[124:125], v[112:113], s[4:5], v[118:119]
	v_fma_f64 v[126:127], v[116:117], s[6:7], v[114:115]
	v_add_f64 v[128:129], v[76:77], v[52:53]
	v_add_f64 v[52:53], v[76:77], -v[52:53]
	v_mul_f64 v[76:77], v[140:141], s[18:19]
	v_mul_f64 v[142:143], v[54:55], s[16:17]
	v_fma_f64 v[112:113], v[112:113], s[4:5], -v[118:119]
	v_fma_f64 v[114:115], v[116:117], s[28:29], v[114:115]
	v_add_f64 v[82:83], v[124:125], v[82:83]
	v_add_f64 v[116:117], v[126:127], v[130:131]
	v_mul_f64 v[118:119], v[140:141], s[34:35]
	v_mul_f64 v[124:125], v[54:55], s[22:23]
	v_fma_f64 v[126:127], v[128:129], s[16:17], v[76:77]
	v_fma_f64 v[130:131], v[52:53], s[30:31], v[142:143]
	v_add_f64 v[86:87], v[112:113], v[86:87]
	v_add_f64 v[84:85], v[114:115], v[84:85]
	v_fma_f64 v[76:77], v[128:129], s[16:17], -v[76:77]
	v_fma_f64 v[112:113], v[52:53], s[18:19], v[142:143]
	v_fma_f64 v[114:115], v[128:129], s[22:23], v[118:119]
	;; [unrolled: 1-line block ×3, first 2 shown]
	v_add_f64 v[108:109], v[126:127], v[108:109]
	v_add_f64 v[48:49], v[130:131], v[48:49]
	v_mul_f64 v[126:127], v[140:141], s[36:37]
	v_mul_f64 v[130:131], v[54:55], s[8:9]
	v_add_f64 v[66:67], v[76:77], v[66:67]
	v_add_f64 v[76:77], v[112:113], v[104:105]
	;; [unrolled: 1-line block ×4, first 2 shown]
	v_fma_f64 v[110:111], v[128:129], s[22:23], -v[118:119]
	v_fma_f64 v[112:113], v[52:53], s[34:35], v[124:125]
	v_fma_f64 v[114:115], v[128:129], s[8:9], v[126:127]
	;; [unrolled: 1-line block ×3, first 2 shown]
	v_mul_f64 v[124:125], v[140:141], s[6:7]
	v_mul_f64 v[142:143], v[54:55], s[4:5]
	v_fma_f64 v[126:127], v[128:129], s[8:9], -v[126:127]
	v_fma_f64 v[130:131], v[52:53], s[36:37], v[130:131]
	v_add_f64 v[110:111], v[110:111], v[120:121]
	v_mul_f64 v[54:55], v[54:55], s[20:21]
	v_add_f64 v[114:115], v[114:115], v[132:133]
	v_add_f64 v[132:133], v[74:75], -v[58:59]
	v_fma_f64 v[120:121], v[128:129], s[4:5], v[124:125]
	v_fma_f64 v[124:125], v[128:129], s[4:5], -v[124:125]
	v_add_f64 v[50:51], v[126:127], v[50:51]
	v_add_f64 v[64:65], v[130:131], v[64:65]
	v_mul_f64 v[126:127], v[140:141], s[24:25]
	v_fma_f64 v[130:131], v[52:53], s[6:7], v[142:143]
	v_add_f64 v[58:59], v[74:75], v[58:59]
	v_add_f64 v[118:119], v[118:119], v[134:135]
	v_fma_f64 v[134:135], v[52:53], s[38:39], v[54:55]
	v_add_f64 v[78:79], v[124:125], v[78:79]
	v_add_f64 v[124:125], v[72:73], v[56:57]
	v_add_f64 v[56:57], v[72:73], -v[56:57]
	v_fma_f64 v[74:75], v[128:129], s[20:21], v[126:127]
	v_add_f64 v[80:81], v[130:131], v[80:81]
	v_mul_f64 v[72:73], v[132:133], s[24:25]
	v_mul_f64 v[130:131], v[58:59], s[20:21]
	v_add_f64 v[112:113], v[112:113], v[122:123]
	v_fma_f64 v[122:123], v[52:53], s[28:29], v[142:143]
	v_fma_f64 v[52:53], v[52:53], s[24:25], v[54:55]
	v_mul_f64 v[54:55], v[132:133], s[30:31]
	v_add_f64 v[74:75], v[74:75], v[82:83]
	v_add_f64 v[82:83], v[134:135], v[116:117]
	v_fma_f64 v[116:117], v[128:129], s[20:21], -v[126:127]
	v_fma_f64 v[128:129], v[124:125], s[20:21], v[72:73]
	v_fma_f64 v[134:135], v[56:57], s[38:39], v[130:131]
	v_mul_f64 v[126:127], v[58:59], s[16:17]
	v_fma_f64 v[72:73], v[124:125], s[20:21], -v[72:73]
	v_fma_f64 v[130:131], v[56:57], s[24:25], v[130:131]
	v_add_f64 v[52:53], v[52:53], v[84:85]
	v_fma_f64 v[84:85], v[124:125], s[16:17], v[54:55]
	v_add_f64 v[86:87], v[116:117], v[86:87]
	v_add_f64 v[108:109], v[128:129], v[108:109]
	;; [unrolled: 1-line block ×3, first 2 shown]
	v_mul_f64 v[48:49], v[132:133], s[6:7]
	v_fma_f64 v[116:117], v[56:57], s[18:19], v[126:127]
	v_add_f64 v[66:67], v[72:73], v[66:67]
	v_add_f64 v[72:73], v[130:131], v[76:77]
	v_mul_f64 v[76:77], v[58:59], s[4:5]
	v_fma_f64 v[126:127], v[56:57], s[30:31], v[126:127]
	v_add_f64 v[136:137], v[136:137], v[152:153]
	v_add_f64 v[138:139], v[138:139], v[154:155]
	v_fma_f64 v[130:131], v[124:125], s[4:5], v[48:49]
	v_fma_f64 v[48:49], v[124:125], s[4:5], -v[48:49]
	v_add_f64 v[84:85], v[84:85], v[104:105]
	v_add_f64 v[104:105], v[116:117], v[106:107]
	v_mul_f64 v[106:107], v[132:133], s[26:27]
	v_mul_f64 v[116:117], v[58:59], s[22:23]
	v_fma_f64 v[54:55], v[124:125], s[16:17], -v[54:55]
	v_fma_f64 v[134:135], v[56:57], s[28:29], v[76:77]
	v_add_f64 v[114:115], v[130:131], v[114:115]
	v_add_f64 v[130:131], v[70:71], -v[62:63]
	v_fma_f64 v[76:77], v[56:57], s[6:7], v[76:77]
	v_add_f64 v[112:113], v[126:127], v[112:113]
	v_add_f64 v[126:127], v[48:49], v[50:51]
	;; [unrolled: 1-line block ×3, first 2 shown]
	v_mul_f64 v[48:49], v[132:133], s[36:37]
	v_add_f64 v[120:121], v[120:121], v[136:137]
	v_add_f64 v[122:123], v[122:123], v[138:139]
	v_fma_f64 v[136:137], v[124:125], s[22:23], v[106:107]
	v_fma_f64 v[138:139], v[56:57], s[34:35], v[116:117]
	v_add_f64 v[110:111], v[54:55], v[110:111]
	v_mul_f64 v[50:51], v[58:59], s[8:9]
	v_fma_f64 v[54:55], v[124:125], s[22:23], -v[106:107]
	v_fma_f64 v[58:59], v[56:57], s[26:27], v[116:117]
	v_add_f64 v[106:107], v[68:69], v[60:61]
	v_add_f64 v[116:117], v[68:69], -v[60:61]
	v_mul_f64 v[60:61], v[130:131], s[26:27]
	v_add_f64 v[76:77], v[76:77], v[64:65]
	v_mul_f64 v[62:63], v[70:71], s[22:23]
	v_fma_f64 v[64:65], v[124:125], s[8:9], v[48:49]
	v_fma_f64 v[68:69], v[56:57], s[14:15], v[50:51]
	v_add_f64 v[78:79], v[54:55], v[78:79]
	v_fma_f64 v[48:49], v[124:125], s[8:9], -v[48:49]
	v_fma_f64 v[50:51], v[56:57], s[36:37], v[50:51]
	v_fma_f64 v[54:55], v[106:107], s[22:23], v[60:61]
	v_add_f64 v[80:81], v[58:59], v[80:81]
	v_fma_f64 v[56:57], v[116:117], s[34:35], v[62:63]
	v_add_f64 v[124:125], v[64:65], v[74:75]
	v_mul_f64 v[58:59], v[130:131], s[28:29]
	v_mul_f64 v[64:65], v[70:71], s[4:5]
	v_add_f64 v[82:83], v[68:69], v[82:83]
	v_add_f64 v[86:87], v[48:49], v[86:87]
	;; [unrolled: 1-line block ×4, first 2 shown]
	v_fma_f64 v[52:53], v[106:107], s[22:23], -v[60:61]
	v_fma_f64 v[54:55], v[116:117], s[26:27], v[62:63]
	v_mul_f64 v[68:69], v[130:131], s[24:25]
	v_mul_f64 v[74:75], v[70:71], s[20:21]
	v_add_f64 v[50:51], v[56:57], v[128:129]
	v_fma_f64 v[56:57], v[106:107], s[4:5], v[58:59]
	v_fma_f64 v[60:61], v[116:117], s[6:7], v[64:65]
	v_add_f64 v[118:119], v[134:135], v[118:119]
	v_fma_f64 v[62:63], v[106:107], s[4:5], -v[58:59]
	v_fma_f64 v[64:65], v[116:117], s[28:29], v[64:65]
	v_add_f64 v[52:53], v[52:53], v[66:67]
	v_add_f64 v[54:55], v[54:55], v[72:73]
	v_fma_f64 v[66:67], v[106:107], s[20:21], v[68:69]
	v_fma_f64 v[72:73], v[116:117], s[38:39], v[74:75]
	v_add_f64 v[56:57], v[56:57], v[84:85]
	v_add_f64 v[58:59], v[60:61], v[104:105]
	v_fma_f64 v[74:75], v[116:117], s[24:25], v[74:75]
	v_mul_f64 v[84:85], v[130:131], s[36:37]
	v_mul_f64 v[104:105], v[70:71], s[8:9]
	v_add_f64 v[60:61], v[62:63], v[110:111]
	v_add_f64 v[62:63], v[64:65], v[112:113]
	;; [unrolled: 1-line block ×4, first 2 shown]
	v_mul_f64 v[72:73], v[130:131], s[18:19]
	v_mul_f64 v[108:109], v[70:71], s[16:17]
	v_add_f64 v[120:121], v[136:137], v[120:121]
	v_add_f64 v[122:123], v[138:139], v[122:123]
	;; [unrolled: 1-line block ×3, first 2 shown]
	v_fma_f64 v[74:75], v[106:107], s[8:9], v[84:85]
	v_fma_f64 v[76:77], v[116:117], s[14:15], v[104:105]
	v_fma_f64 v[84:85], v[106:107], s[8:9], -v[84:85]
	v_fma_f64 v[104:105], v[116:117], s[36:37], v[104:105]
	v_fma_f64 v[110:111], v[106:107], s[16:17], v[72:73]
	;; [unrolled: 1-line block ×3, first 2 shown]
	v_fma_f64 v[68:69], v[106:107], s[20:21], -v[68:69]
	v_fma_f64 v[106:107], v[106:107], s[16:17], -v[72:73]
	v_fma_f64 v[108:109], v[116:117], s[18:19], v[108:109]
	v_add_f64 v[72:73], v[74:75], v[120:121]
	v_add_f64 v[74:75], v[76:77], v[122:123]
	;; [unrolled: 1-line block ×4, first 2 shown]
	v_lshrrev_b32_e32 v104, 1, v90
	v_mul_u32_u24_e32 v104, 22, v104
	v_add_f64 v[80:81], v[110:111], v[124:125]
	v_add_f64 v[82:83], v[112:113], v[82:83]
	v_or_b32_e32 v103, v104, v103
	v_add_f64 v[84:85], v[106:107], v[86:87]
	v_add_f64 v[86:87], v[108:109], v[132:133]
	v_lshlrev_b32_e32 v103, 4, v103
	v_add3_u32 v103, 0, v103, v99
	v_add_f64 v[68:69], v[68:69], v[126:127]
	ds_write_b128 v103, v[44:47]
	ds_write_b128 v103, v[48:51] offset:32
	ds_write_b128 v103, v[56:59] offset:64
	;; [unrolled: 1-line block ×10, first 2 shown]
	s_and_saveexec_b64 s[38:39], vcc
	s_cbranch_execz .LBB0_16
; %bb.15:
	v_and_b32_e32 v52, 1, v94
	v_mul_u32_u24_e32 v44, 10, v52
	v_lshlrev_b32_e32 v44, 4, v44
	global_load_dwordx4 v[46:49], v44, s[12:13] offset:64
	global_load_dwordx4 v[53:56], v44, s[12:13] offset:80
	;; [unrolled: 1-line block ×8, first 2 shown]
	global_load_dwordx4 v[81:84], v44, s[12:13]
	global_load_dwordx4 v[103:106], v44, s[12:13] offset:144
	s_waitcnt vmcnt(9)
	v_mul_f64 v[44:45], v[22:23], v[48:49]
	v_mul_f64 v[48:49], v[20:21], v[48:49]
	s_waitcnt vmcnt(7)
	v_mul_f64 v[85:86], v[18:19], v[59:60]
	v_mul_f64 v[50:51], v[26:27], v[55:56]
	s_waitcnt vmcnt(5)
	v_mul_f64 v[109:110], v[14:15], v[67:68]
	s_waitcnt vmcnt(4)
	v_mul_f64 v[111:112], v[34:35], v[71:72]
	v_mul_f64 v[71:72], v[32:33], v[71:72]
	s_waitcnt vmcnt(3)
	v_mul_f64 v[113:114], v[10:11], v[75:76]
	;; [unrolled: 3-line block ×3, first 2 shown]
	s_waitcnt vmcnt(0)
	v_mul_f64 v[119:120], v[42:43], v[105:106]
	v_mul_f64 v[55:56], v[24:25], v[55:56]
	;; [unrolled: 1-line block ×10, first 2 shown]
	v_fma_f64 v[44:45], v[20:21], v[46:47], v[44:45]
	v_fma_f64 v[46:47], v[22:23], v[46:47], -v[48:49]
	v_fma_f64 v[48:49], v[16:17], v[57:58], v[85:86]
	v_fma_f64 v[85:86], v[12:13], v[65:66], v[109:110]
	;; [unrolled: 1-line block ×3, first 2 shown]
	v_fma_f64 v[16:17], v[34:35], v[69:70], -v[71:72]
	v_fma_f64 v[69:70], v[8:9], v[73:74], v[113:114]
	v_fma_f64 v[71:72], v[10:11], v[73:74], -v[75:76]
	v_fma_f64 v[73:74], v[4:5], v[81:82], v[117:118]
	v_fma_f64 v[4:5], v[40:41], v[103:104], v[119:120]
	;; [unrolled: 1-line block ×3, first 2 shown]
	v_fma_f64 v[22:23], v[26:27], v[53:54], -v[55:56]
	v_fma_f64 v[20:21], v[28:29], v[61:62], v[107:108]
	v_fma_f64 v[50:51], v[18:19], v[57:58], -v[59:60]
	v_fma_f64 v[18:19], v[30:31], v[61:62], -v[63:64]
	;; [unrolled: 1-line block ×3, first 2 shown]
	v_fma_f64 v[8:9], v[36:37], v[77:78], v[115:116]
	v_fma_f64 v[10:11], v[38:39], v[77:78], -v[79:80]
	v_fma_f64 v[75:76], v[6:7], v[81:82], -v[83:84]
	;; [unrolled: 1-line block ×3, first 2 shown]
	v_add_f64 v[105:106], v[73:74], -v[4:5]
	v_add_f64 v[77:78], v[44:45], -v[24:25]
	;; [unrolled: 1-line block ×7, first 2 shown]
	v_add_f64 v[109:110], v[75:76], v[6:7]
	v_add_f64 v[119:120], v[107:108], -v[16:17]
	v_add_f64 v[123:124], v[71:72], -v[10:11]
	;; [unrolled: 1-line block ×3, first 2 shown]
	v_mul_f64 v[40:41], v[105:106], s[26:27]
	v_add_f64 v[14:15], v[46:47], v[22:23]
	v_add_f64 v[28:29], v[50:51], v[18:19]
	;; [unrolled: 1-line block ×9, first 2 shown]
	v_mul_f64 v[32:33], v[77:78], s[18:19]
	v_mul_f64 v[34:35], v[79:80], s[36:37]
	;; [unrolled: 1-line block ×11, first 2 shown]
	v_fma_f64 v[149:150], v[109:110], s[22:23], v[40:41]
	v_mul_f64 v[67:68], v[83:84], s[30:31]
	v_mul_f64 v[137:138], v[123:124], s[30:31]
	v_fma_f64 v[141:142], v[14:15], s[16:17], v[32:33]
	v_fma_f64 v[143:144], v[28:29], s[8:9], v[34:35]
	;; [unrolled: 1-line block ×4, first 2 shown]
	v_fma_f64 v[151:152], v[26:27], s[16:17], -v[42:43]
	v_fma_f64 v[153:154], v[113:114], s[8:9], -v[53:54]
	;; [unrolled: 1-line block ×10, first 2 shown]
	v_fma_f64 v[40:41], v[26:27], s[16:17], v[42:43]
	v_fma_f64 v[42:43], v[113:114], s[8:9], v[53:54]
	;; [unrolled: 1-line block ×6, first 2 shown]
	v_fma_f64 v[173:174], v[125:126], s[20:21], -v[139:140]
	v_add_f64 v[149:150], v[2:3], v[149:150]
	v_mul_f64 v[65:66], v[81:82], s[6:7]
	v_mul_f64 v[135:136], v[119:120], s[6:7]
	v_fma_f64 v[167:168], v[103:104], s[16:17], v[67:68]
	v_add_f64 v[159:160], v[0:1], v[159:160]
	v_add_f64 v[38:39], v[2:3], v[38:39]
	;; [unrolled: 1-line block ×3, first 2 shown]
	v_fma_f64 v[177:178], v[121:122], s[16:17], -v[137:138]
	v_add_f64 v[169:170], v[2:3], v[169:170]
	v_add_f64 v[173:174], v[0:1], v[173:174]
	;; [unrolled: 1-line block ×3, first 2 shown]
	v_mul_f64 v[63:64], v[79:80], s[26:27]
	v_mul_f64 v[133:134], v[115:116], s[26:27]
	v_fma_f64 v[165:166], v[30:31], s[4:5], v[65:66]
	v_add_f64 v[149:150], v[157:158], v[159:160]
	v_add_f64 v[36:37], v[36:37], v[38:39]
	;; [unrolled: 1-line block ×3, first 2 shown]
	v_fma_f64 v[55:56], v[117:118], s[4:5], -v[135:136]
	v_fma_f64 v[57:58], v[109:110], s[20:21], -v[129:130]
	v_add_f64 v[129:130], v[167:168], v[169:170]
	v_add_f64 v[157:158], v[177:178], v[173:174]
	;; [unrolled: 1-line block ×3, first 2 shown]
	v_mul_f64 v[61:62], v[77:78], s[36:37]
	v_mul_f64 v[131:132], v[111:112], s[36:37]
	v_fma_f64 v[163:164], v[28:29], s[22:23], v[63:64]
	v_fma_f64 v[175:176], v[113:114], s[22:23], -v[133:134]
	v_add_f64 v[34:35], v[34:35], v[36:37]
	v_add_f64 v[36:37], v[53:54], v[38:39]
	v_fma_f64 v[38:39], v[103:104], s[16:17], -v[67:68]
	v_add_f64 v[53:54], v[2:3], v[57:58]
	v_add_f64 v[57:58], v[165:166], v[129:130]
	;; [unrolled: 1-line block ×4, first 2 shown]
	v_fma_f64 v[59:60], v[14:15], s[8:9], v[61:62]
	v_fma_f64 v[171:172], v[26:27], s[8:9], -v[131:132]
	v_add_f64 v[147:148], v[155:156], v[149:150]
	v_add_f64 v[143:144], v[32:33], v[34:35]
	;; [unrolled: 1-line block ×3, first 2 shown]
	v_fma_f64 v[42:43], v[30:31], s[4:5], -v[65:66]
	v_add_f64 v[53:54], v[38:39], v[53:54]
	v_add_f64 v[57:58], v[163:164], v[57:58]
	;; [unrolled: 1-line block ×4, first 2 shown]
	v_mul_f64 v[65:66], v[105:106], s[18:19]
	v_fma_f64 v[67:68], v[125:126], s[20:21], v[139:140]
	v_add_f64 v[129:130], v[153:154], v[147:148]
	v_add_f64 v[36:37], v[40:41], v[36:37]
	v_fma_f64 v[63:64], v[28:29], s[22:23], -v[63:64]
	v_add_f64 v[53:54], v[42:43], v[53:54]
	v_add_f64 v[42:43], v[59:60], v[57:58]
	;; [unrolled: 1-line block ×3, first 2 shown]
	v_fma_f64 v[55:56], v[121:122], s[16:17], v[137:138]
	v_mul_f64 v[57:58], v[83:84], s[34:35]
	v_fma_f64 v[59:60], v[109:110], s[16:17], v[65:66]
	v_add_f64 v[67:68], v[0:1], v[67:68]
	v_add_f64 v[32:33], v[151:152], v[129:130]
	;; [unrolled: 1-line block ×3, first 2 shown]
	v_fma_f64 v[63:64], v[117:118], s[4:5], v[135:136]
	v_mul_f64 v[129:130], v[127:128], s[18:19]
	v_mul_f64 v[135:136], v[81:82], s[36:37]
	v_fma_f64 v[137:138], v[103:104], s[22:23], v[57:58]
	v_add_f64 v[59:60], v[2:3], v[59:60]
	v_add_f64 v[55:56], v[55:56], v[67:68]
	;; [unrolled: 1-line block ×3, first 2 shown]
	v_fma_f64 v[67:68], v[26:27], s[8:9], v[131:132]
	v_fma_f64 v[131:132], v[113:114], s[22:23], v[133:134]
	v_mul_f64 v[133:134], v[123:124], s[34:35]
	v_fma_f64 v[139:140], v[125:126], s[16:17], -v[129:130]
	v_mul_f64 v[141:142], v[79:80], s[6:7]
	v_fma_f64 v[143:144], v[30:31], s[8:9], v[135:136]
	v_add_f64 v[59:60], v[137:138], v[59:60]
	v_add_f64 v[55:56], v[63:64], v[55:56]
	v_fma_f64 v[65:66], v[109:110], s[16:17], -v[65:66]
	v_fma_f64 v[61:62], v[14:15], s[8:9], -v[61:62]
	;; [unrolled: 1-line block ×3, first 2 shown]
	v_add_f64 v[139:140], v[0:1], v[139:140]
	v_mul_f64 v[145:146], v[77:78], s[24:25]
	v_fma_f64 v[147:148], v[28:29], s[4:5], v[141:142]
	v_add_f64 v[59:60], v[143:144], v[59:60]
	v_fma_f64 v[57:58], v[103:104], s[22:23], -v[57:58]
	v_add_f64 v[65:66], v[2:3], v[65:66]
	v_add_f64 v[131:132], v[131:132], v[55:56]
	v_mul_f64 v[63:64], v[119:120], s[36:37]
	v_add_f64 v[137:138], v[137:138], v[139:140]
	v_fma_f64 v[139:140], v[14:15], s[20:21], v[145:146]
	v_fma_f64 v[135:136], v[30:31], s[8:9], -v[135:136]
	v_add_f64 v[59:60], v[147:148], v[59:60]
	v_add_f64 v[55:56], v[61:62], v[53:54]
	;; [unrolled: 1-line block ×4, first 2 shown]
	v_mul_f64 v[67:68], v[105:106], s[14:15]
	v_fma_f64 v[149:150], v[117:118], s[8:9], -v[63:64]
	v_fma_f64 v[61:62], v[28:29], s[4:5], -v[141:142]
	v_fma_f64 v[129:130], v[125:126], s[16:17], v[129:130]
	v_add_f64 v[59:60], v[139:140], v[59:60]
	v_mul_f64 v[139:140], v[83:84], s[24:25]
	v_add_f64 v[57:58], v[135:136], v[57:58]
	v_mul_f64 v[143:144], v[115:116], s[6:7]
	v_fma_f64 v[141:142], v[109:110], s[8:9], v[67:68]
	v_add_f64 v[137:138], v[149:150], v[137:138]
	v_mul_f64 v[149:150], v[81:82], s[34:35]
	v_add_f64 v[129:130], v[0:1], v[129:130]
	v_mul_f64 v[147:148], v[111:112], s[24:25]
	v_fma_f64 v[151:152], v[103:104], s[20:21], v[139:140]
	v_add_f64 v[61:62], v[61:62], v[57:58]
	v_fma_f64 v[57:58], v[121:122], s[22:23], v[133:134]
	v_add_f64 v[141:142], v[2:3], v[141:142]
	v_fma_f64 v[65:66], v[113:114], s[4:5], -v[143:144]
	v_mul_f64 v[135:136], v[127:128], s[14:15]
	v_fma_f64 v[63:64], v[117:118], s[8:9], v[63:64]
	v_fma_f64 v[157:158], v[30:31], s[22:23], v[149:150]
	v_fma_f64 v[67:68], v[109:110], s[8:9], -v[67:68]
	v_fma_f64 v[131:132], v[26:27], s[20:21], -v[147:148]
	v_add_f64 v[57:58], v[57:58], v[129:130]
	v_mul_f64 v[129:130], v[79:80], s[30:31]
	v_add_f64 v[141:142], v[151:152], v[141:142]
	v_add_f64 v[65:66], v[65:66], v[137:138]
	v_fma_f64 v[137:138], v[14:15], s[20:21], -v[145:146]
	v_mul_f64 v[133:134], v[123:124], s[24:25]
	v_fma_f64 v[145:146], v[125:126], s[8:9], -v[135:136]
	v_fma_f64 v[143:144], v[113:114], s[4:5], v[143:144]
	v_add_f64 v[57:58], v[63:64], v[57:58]
	v_fma_f64 v[63:64], v[28:29], s[16:17], v[129:130]
	v_add_f64 v[141:142], v[157:158], v[141:142]
	v_fma_f64 v[139:140], v[103:104], s[20:21], -v[139:140]
	v_add_f64 v[67:68], v[2:3], v[67:68]
	v_add_f64 v[75:76], v[2:3], v[75:76]
	;; [unrolled: 1-line block ×3, first 2 shown]
	v_fma_f64 v[155:156], v[121:122], s[20:21], -v[133:134]
	v_add_f64 v[145:146], v[0:1], v[145:146]
	v_add_f64 v[143:144], v[143:144], v[57:58]
	;; [unrolled: 1-line block ×5, first 2 shown]
	v_fma_f64 v[131:132], v[30:31], s[22:23], -v[149:150]
	v_add_f64 v[137:138], v[139:140], v[67:68]
	v_mul_f64 v[105:106], v[105:106], s[6:7]
	v_add_f64 v[75:76], v[75:76], v[71:72]
	v_add_f64 v[69:70], v[73:74], v[69:70]
	;; [unrolled: 1-line block ×3, first 2 shown]
	v_mul_f64 v[155:156], v[77:78], s[28:29]
	v_fma_f64 v[129:130], v[28:29], s[16:17], -v[129:130]
	v_mul_f64 v[83:84], v[83:84], s[14:15]
	v_add_f64 v[131:132], v[131:132], v[137:138]
	v_fma_f64 v[139:140], v[109:110], s[4:5], v[105:106]
	v_add_f64 v[75:76], v[75:76], v[107:108]
	v_add_f64 v[69:70], v[69:70], v[85:86]
	v_mul_f64 v[81:82], v[81:82], s[18:19]
	v_fma_f64 v[137:138], v[14:15], s[4:5], -v[155:156]
	v_mul_f64 v[127:128], v[127:128], s[6:7]
	v_mul_f64 v[153:154], v[119:120], s[34:35]
	v_add_f64 v[129:130], v[129:130], v[131:132]
	v_fma_f64 v[131:132], v[103:104], s[8:9], v[83:84]
	v_add_f64 v[73:74], v[2:3], v[139:140]
	v_add_f64 v[50:51], v[75:76], v[50:51]
	v_add_f64 v[48:49], v[69:70], v[48:49]
	v_mul_f64 v[157:158], v[111:112], s[28:29]
	v_fma_f64 v[105:106], v[109:110], s[4:5], -v[105:106]
	v_mul_f64 v[109:110], v[123:124], s[14:15]
	v_add_f64 v[71:72], v[137:138], v[129:130]
	v_fma_f64 v[129:130], v[30:31], s[16:17], v[81:82]
	v_add_f64 v[73:74], v[131:132], v[73:74]
	v_add_f64 v[46:47], v[50:51], v[46:47]
	;; [unrolled: 1-line block ×3, first 2 shown]
	v_fma_f64 v[159:160], v[117:118], s[22:23], -v[153:154]
	v_fma_f64 v[135:136], v[125:126], s[8:9], v[135:136]
	v_fma_f64 v[50:51], v[125:126], s[4:5], -v[127:128]
	v_mul_f64 v[48:49], v[119:120], s[18:19]
	v_fma_f64 v[83:84], v[103:104], s[8:9], -v[83:84]
	v_add_f64 v[69:70], v[129:130], v[73:74]
	v_mul_f64 v[73:74], v[111:112], s[26:27]
	v_fma_f64 v[111:112], v[125:126], s[4:5], v[127:128]
	v_add_f64 v[22:23], v[46:47], v[22:23]
	v_add_f64 v[24:25], v[44:45], v[24:25]
	;; [unrolled: 1-line block ×3, first 2 shown]
	v_fma_f64 v[103:104], v[121:122], s[8:9], v[109:110]
	v_add_f64 v[145:146], v[159:160], v[145:146]
	v_fma_f64 v[159:160], v[14:15], s[4:5], v[155:156]
	v_fma_f64 v[133:134], v[121:122], s[20:21], v[133:134]
	v_add_f64 v[105:106], v[0:1], v[111:112]
	v_add_f64 v[135:136], v[0:1], v[135:136]
	v_fma_f64 v[44:45], v[121:122], s[8:9], -v[109:110]
	v_add_f64 v[0:1], v[0:1], v[50:51]
	v_add_f64 v[18:19], v[22:23], v[18:19]
	v_add_f64 v[20:21], v[24:25], v[20:21]
	v_mul_f64 v[79:80], v[79:80], s[24:25]
	v_mul_f64 v[75:76], v[115:116], s[24:25]
	v_fma_f64 v[30:31], v[30:31], s[16:17], -v[81:82]
	v_add_f64 v[2:3], v[83:84], v[2:3]
	v_fma_f64 v[46:47], v[117:118], s[16:17], v[48:49]
	v_add_f64 v[50:51], v[103:104], v[105:106]
	v_mul_f64 v[151:152], v[115:116], s[30:31]
	v_add_f64 v[67:68], v[159:160], v[141:142]
	v_fma_f64 v[141:142], v[117:118], s[22:23], v[153:154]
	v_add_f64 v[133:134], v[133:134], v[135:136]
	v_fma_f64 v[22:23], v[117:118], s[16:17], -v[48:49]
	v_add_f64 v[0:1], v[44:45], v[0:1]
	v_add_f64 v[16:17], v[18:19], v[16:17]
	;; [unrolled: 1-line block ×3, first 2 shown]
	v_mul_f64 v[77:78], v[77:78], s[26:27]
	v_fma_f64 v[131:132], v[28:29], s[20:21], v[79:80]
	v_fma_f64 v[24:25], v[28:29], s[20:21], -v[79:80]
	v_add_f64 v[2:3], v[30:31], v[2:3]
	v_fma_f64 v[28:29], v[113:114], s[20:21], v[75:76]
	v_add_f64 v[30:31], v[46:47], v[50:51]
	v_fma_f64 v[135:136], v[113:114], s[16:17], v[151:152]
	v_add_f64 v[133:134], v[141:142], v[133:134]
	v_fma_f64 v[161:162], v[113:114], s[16:17], -v[151:152]
	v_fma_f64 v[18:19], v[113:114], s[20:21], -v[75:76]
	v_add_f64 v[0:1], v[22:23], v[0:1]
	v_add_f64 v[10:11], v[16:17], v[10:11]
	;; [unrolled: 1-line block ×3, first 2 shown]
	v_fma_f64 v[20:21], v[14:15], s[22:23], -v[77:78]
	v_add_f64 v[2:3], v[24:25], v[2:3]
	v_fma_f64 v[22:23], v[26:27], s[22:23], v[73:74]
	v_add_f64 v[24:25], v[28:29], v[30:31]
	v_fma_f64 v[85:86], v[26:27], s[4:5], v[157:158]
	;; [unrolled: 2-line block ×3, first 2 shown]
	v_fma_f64 v[12:13], v[14:15], s[22:23], v[77:78]
	v_add_f64 v[14:15], v[131:132], v[69:70]
	v_fma_f64 v[163:164], v[26:27], s[4:5], -v[157:158]
	v_add_f64 v[145:146], v[161:162], v[145:146]
	v_fma_f64 v[16:17], v[26:27], s[22:23], -v[73:74]
	v_add_f64 v[18:19], v[18:19], v[0:1]
	v_add_f64 v[6:7], v[10:11], v[6:7]
	;; [unrolled: 1-line block ×3, first 2 shown]
	v_lshrrev_b32_e32 v8, 1, v94
	v_add_f64 v[2:3], v[20:21], v[2:3]
	v_add_f64 v[0:1], v[22:23], v[24:25]
	v_mul_lo_u32 v20, v8, 22
	v_add_f64 v[69:70], v[85:86], v[107:108]
	v_add_f64 v[61:62], v[147:148], v[143:144]
	;; [unrolled: 1-line block ×3, first 2 shown]
	v_or_b32_e32 v12, v20, v52
	v_lshlrev_b32_e32 v12, 4, v12
	v_add3_u32 v12, 0, v12, v99
	v_add_f64 v[65:66], v[163:164], v[145:146]
	v_add_f64 v[8:9], v[16:17], v[18:19]
	ds_write_b128 v12, v[4:7]
	ds_write_b128 v12, v[0:3] offset:32
	ds_write_b128 v12, v[69:72] offset:64
	;; [unrolled: 1-line block ×10, first 2 shown]
.LBB0_16:
	s_or_b64 exec, exec, s[38:39]
	v_lshrrev_b16_e32 v0, 1, v90
	v_and_b32_e32 v0, 0x7f, v0
	v_mul_lo_u16_e32 v0, 0xbb, v0
	v_lshrrev_b16_e32 v3, 11, v0
	v_mul_lo_u16_e32 v0, 22, v3
	v_sub_u16_e32 v4, v90, v0
	v_mov_b32_e32 v0, 6
	v_mul_u32_u24_sdwa v1, v4, v0 dst_sel:DWORD dst_unused:UNUSED_PAD src0_sel:BYTE_0 src1_sel:DWORD
	v_lshlrev_b32_e32 v1, 4, v1
	s_waitcnt lgkmcnt(0)
	s_barrier
	global_load_dwordx4 v[6:9], v1, s[12:13] offset:336
	global_load_dwordx4 v[10:13], v1, s[12:13] offset:320
	;; [unrolled: 1-line block ×6, first 2 shown]
	v_lshrrev_b16_e32 v1, 1, v94
	v_and_b32_e32 v1, 0x7f, v1
	v_mul_lo_u16_e32 v1, 0xbb, v1
	v_lshrrev_b16_e32 v148, 11, v1
	v_mul_lo_u16_e32 v1, 22, v148
	v_sub_u16_e32 v149, v94, v1
	v_mul_u32_u24_sdwa v0, v149, v0 dst_sel:DWORD dst_unused:UNUSED_PAD src0_sel:BYTE_0 src1_sel:DWORD
	v_lshlrev_b32_e32 v0, 4, v0
	global_load_dwordx4 v[30:33], v0, s[12:13] offset:320
	global_load_dwordx4 v[34:37], v0, s[12:13] offset:336
	;; [unrolled: 1-line block ×6, first 2 shown]
	v_lshlrev_b32_e32 v1, 4, v98
	v_lshlrev_b32_e32 v2, 4, v97
	v_add3_u32 v1, 0, v1, v99
	v_lshlrev_b32_e32 v5, 4, v96
	v_add3_u32 v0, 0, v102, v99
	ds_read_b128 v[54:57], v101
	ds_read_b128 v[58:61], v95 offset:3696
	ds_read_b128 v[62:65], v95 offset:6160
	;; [unrolled: 1-line block ×9, first 2 shown]
	v_add3_u32 v2, 0, v2, v99
	ds_read_b128 v[110:113], v1
	v_add3_u32 v5, 0, v5, v99
	ds_read_b128 v[114:117], v2
	ds_read_b128 v[118:121], v5
	;; [unrolled: 1-line block ×3, first 2 shown]
	s_mov_b32 s6, 0x37e14327
	s_mov_b32 s4, 0x36b3c0b5
	;; [unrolled: 1-line block ×20, first 2 shown]
	s_movk_i32 s28, 0x9a0
	v_mad_u32_u24 v3, v3, s28, 0
	s_waitcnt vmcnt(0) lgkmcnt(0)
	s_barrier
	v_mul_f64 v[126:127], v[116:117], v[8:9]
	v_mul_f64 v[86:87], v[112:113], v[12:13]
	;; [unrolled: 1-line block ×22, first 2 shown]
	v_fma_f64 v[86:87], v[110:111], v[10:11], v[86:87]
	v_fma_f64 v[10:11], v[112:113], v[10:11], -v[12:13]
	v_fma_f64 v[12:13], v[114:115], v[6:7], v[126:127]
	v_fma_f64 v[6:7], v[116:117], v[6:7], -v[8:9]
	;; [unrolled: 2-line block ×11, first 2 shown]
	v_add_f64 v[24:25], v[86:87], v[28:29]
	v_add_f64 v[48:49], v[10:11], v[22:23]
	v_add_f64 v[10:11], v[10:11], -v[22:23]
	v_add_f64 v[22:23], v[12:13], v[16:17]
	v_add_f64 v[60:61], v[6:7], v[26:27]
	v_add_f64 v[28:29], v[86:87], -v[28:29]
	v_add_f64 v[12:13], v[12:13], -v[16:17]
	;; [unrolled: 1-line block ×3, first 2 shown]
	v_add_f64 v[16:17], v[8:9], v[20:21]
	v_add_f64 v[26:27], v[18:19], v[14:15]
	v_add_f64 v[8:9], v[20:21], -v[8:9]
	v_add_f64 v[14:15], v[14:15], -v[18:19]
	v_add_f64 v[18:19], v[22:23], v[24:25]
	v_add_f64 v[20:21], v[60:61], v[48:49]
	v_add_f64 v[62:63], v[22:23], -v[24:25]
	v_add_f64 v[64:65], v[60:61], -v[48:49]
	;; [unrolled: 1-line block ×6, first 2 shown]
	v_add_f64 v[66:67], v[8:9], v[12:13]
	v_add_f64 v[68:69], v[14:15], v[6:7]
	v_add_f64 v[70:71], v[8:9], -v[12:13]
	v_add_f64 v[72:73], v[14:15], -v[6:7]
	v_add_f64 v[16:17], v[16:17], v[18:19]
	v_add_f64 v[18:19], v[26:27], v[20:21]
	v_add_f64 v[12:13], v[12:13], -v[28:29]
	v_add_f64 v[26:27], v[6:7], -v[10:11]
	;; [unrolled: 1-line block ×4, first 2 shown]
	v_add_f64 v[28:29], v[66:67], v[28:29]
	v_add_f64 v[10:11], v[68:69], v[10:11]
	;; [unrolled: 1-line block ×4, first 2 shown]
	v_mul_f64 v[24:25], v[24:25], s[6:7]
	v_mul_f64 v[48:49], v[48:49], s[6:7]
	;; [unrolled: 1-line block ×10, first 2 shown]
	v_fma_f64 v[16:17], v[16:17], s[16:17], v[6:7]
	v_fma_f64 v[18:19], v[18:19], s[16:17], v[8:9]
	;; [unrolled: 1-line block ×4, first 2 shown]
	v_fma_f64 v[54:55], v[62:63], s[18:19], -v[54:55]
	v_fma_f64 v[56:57], v[64:65], s[18:19], -v[56:57]
	;; [unrolled: 1-line block ×4, first 2 shown]
	v_fma_f64 v[62:63], v[20:21], s[22:23], v[66:67]
	v_fma_f64 v[64:65], v[14:15], s[22:23], v[68:69]
	v_fma_f64 v[12:13], v[12:13], s[8:9], -v[66:67]
	v_fma_f64 v[26:27], v[26:27], s[8:9], -v[68:69]
	;; [unrolled: 1-line block ×4, first 2 shown]
	v_add_f64 v[66:67], v[22:23], v[16:17]
	v_add_f64 v[22:23], v[54:55], v[16:17]
	;; [unrolled: 1-line block ×5, first 2 shown]
	v_fma_f64 v[24:25], v[10:11], s[24:25], v[26:27]
	v_fma_f64 v[70:71], v[28:29], s[24:25], v[20:21]
	;; [unrolled: 1-line block ×5, first 2 shown]
	v_fma_f64 v[50:51], v[108:109], v[50:51], -v[52:53]
	v_add_f64 v[60:61], v[60:61], v[18:19]
	v_fma_f64 v[62:63], v[28:29], s[24:25], v[62:63]
	v_add_f64 v[18:19], v[22:23], -v[24:25]
	v_add_f64 v[16:17], v[48:49], -v[70:71]
	v_add_f64 v[14:15], v[68:69], v[56:57]
	v_add_f64 v[20:21], v[26:27], v[54:55]
	;; [unrolled: 1-line block ×3, first 2 shown]
	v_add_f64 v[24:25], v[54:55], -v[26:27]
	v_add_f64 v[26:27], v[56:57], -v[68:69]
	v_add_f64 v[28:29], v[70:71], v[48:49]
	v_add_f64 v[48:49], v[58:59], v[72:73]
	;; [unrolled: 1-line block ×3, first 2 shown]
	v_add_f64 v[30:31], v[30:31], -v[50:51]
	v_add_f64 v[50:51], v[32:33], v[44:45]
	v_add_f64 v[56:57], v[34:35], v[46:47]
	v_add_f64 v[32:33], v[32:33], -v[44:45]
	v_add_f64 v[34:35], v[34:35], -v[46:47]
	v_add_f64 v[44:45], v[36:37], v[40:41]
	v_add_f64 v[46:47], v[38:39], v[42:43]
	v_add_f64 v[36:37], v[40:41], -v[36:37]
	;; [unrolled: 4-line block ×3, first 2 shown]
	v_add_f64 v[58:59], v[50:51], -v[48:49]
	v_add_f64 v[68:69], v[56:57], -v[52:53]
	;; [unrolled: 1-line block ×6, first 2 shown]
	v_add_f64 v[70:71], v[36:37], v[32:33]
	v_add_f64 v[72:73], v[38:39], v[34:35]
	v_add_f64 v[74:75], v[36:37], -v[32:33]
	v_add_f64 v[76:77], v[38:39], -v[34:35]
	v_add_f64 v[40:41], v[44:45], v[40:41]
	v_add_f64 v[42:43], v[46:47], v[42:43]
	v_add_f64 v[44:45], v[32:33], -v[54:55]
	v_add_f64 v[34:35], v[34:35], -v[30:31]
	;; [unrolled: 1-line block ×4, first 2 shown]
	v_add_f64 v[46:47], v[70:71], v[54:55]
	v_add_f64 v[54:55], v[72:73], v[30:31]
	;; [unrolled: 1-line block ×4, first 2 shown]
	v_mul_f64 v[48:49], v[48:49], s[6:7]
	v_mul_f64 v[52:53], v[52:53], s[6:7]
	;; [unrolled: 1-line block ×8, first 2 shown]
	v_fma_f64 v[40:41], v[40:41], s[16:17], v[30:31]
	v_fma_f64 v[42:43], v[42:43], s[16:17], v[32:33]
	;; [unrolled: 1-line block ×4, first 2 shown]
	v_fma_f64 v[70:71], v[58:59], s[18:19], -v[70:71]
	v_fma_f64 v[72:73], v[68:69], s[18:19], -v[72:73]
	;; [unrolled: 1-line block ×4, first 2 shown]
	v_fma_f64 v[58:59], v[36:37], s[22:23], v[74:75]
	v_fma_f64 v[68:69], v[38:39], s[22:23], v[76:77]
	v_fma_f64 v[36:37], v[36:37], s[26:27], -v[78:79]
	v_fma_f64 v[38:39], v[38:39], s[26:27], -v[80:81]
	;; [unrolled: 1-line block ×4, first 2 shown]
	v_fma_f64 v[64:65], v[10:11], s[24:25], v[64:65]
	v_add_f64 v[74:75], v[50:51], v[40:41]
	v_add_f64 v[76:77], v[56:57], v[42:43]
	v_fma_f64 v[68:69], v[54:55], s[24:25], v[68:69]
	v_fma_f64 v[78:79], v[46:47], s[24:25], v[58:59]
	v_add_f64 v[50:51], v[70:71], v[40:41]
	v_add_f64 v[56:57], v[72:73], v[42:43]
	;; [unrolled: 1-line block ×4, first 2 shown]
	v_fma_f64 v[58:59], v[54:55], s[24:25], v[38:39]
	v_fma_f64 v[80:81], v[46:47], s[24:25], v[36:37]
	;; [unrolled: 1-line block ×4, first 2 shown]
	v_add_f64 v[10:11], v[64:65], v[66:67]
	v_add_f64 v[12:13], v[60:61], -v[62:63]
	v_add_f64 v[38:39], v[68:69], v[74:75]
	v_add_f64 v[40:41], v[76:77], -v[78:79]
	;; [unrolled: 2-line block ×4, first 2 shown]
	v_add_f64 v[48:49], v[54:55], v[56:57]
	v_mov_b32_e32 v62, 4
	v_add_f64 v[34:35], v[66:67], -v[64:65]
	v_add_f64 v[50:51], v[52:53], v[50:51]
	v_add_f64 v[52:53], v[56:57], -v[54:55]
	v_lshlrev_b32_sdwa v4, v62, v4 dst_sel:DWORD dst_unused:UNUSED_PAD src0_sel:DWORD src1_sel:BYTE_0
	v_add_f64 v[54:55], v[70:71], -v[58:59]
	v_add_f64 v[56:57], v[80:81], v[72:73]
	v_add3_u32 v3, v3, v4, v99
	v_add_f64 v[58:59], v[74:75], -v[68:69]
	v_add_f64 v[60:61], v[78:79], v[76:77]
	ds_write_b128 v3, v[6:9]
	ds_write_b128 v3, v[10:13] offset:352
	ds_write_b128 v3, v[14:17] offset:704
	;; [unrolled: 1-line block ×6, first 2 shown]
	v_mad_u32_u24 v3, v148, s28, 0
	v_lshlrev_b32_sdwa v4, v62, v149 dst_sel:DWORD dst_unused:UNUSED_PAD src0_sel:DWORD src1_sel:BYTE_0
	v_add3_u32 v3, v3, v4, v99
	ds_write_b128 v3, v[30:33]
	ds_write_b128 v3, v[38:41] offset:352
	ds_write_b128 v3, v[42:45] offset:704
	;; [unrolled: 1-line block ×6, first 2 shown]
	v_mul_u32_u24_e32 v3, 6, v90
	v_lshlrev_b32_e32 v3, 4, v3
	s_waitcnt lgkmcnt(0)
	s_barrier
	global_load_dwordx4 v[6:9], v3, s[12:13] offset:2432
	global_load_dwordx4 v[10:13], v3, s[12:13] offset:2448
	;; [unrolled: 1-line block ×6, first 2 shown]
	v_mul_i32_i24_e32 v3, 6, v94
	v_mov_b32_e32 v4, 0
	v_lshlrev_b64 v[30:31], 4, v[3:4]
	v_mov_b32_e32 v3, s13
	v_add_co_u32_e32 v54, vcc, s12, v30
	v_addc_co_u32_e32 v55, vcc, v3, v31, vcc
	global_load_dwordx4 v[30:33], v[54:55], off offset:2432
	global_load_dwordx4 v[34:37], v[54:55], off offset:2448
	;; [unrolled: 1-line block ×6, first 2 shown]
	ds_read_b128 v[54:57], v1
	ds_read_b128 v[58:61], v2
	;; [unrolled: 1-line block ×5, first 2 shown]
	ds_read_b128 v[74:77], v95 offset:3696
	ds_read_b128 v[78:81], v95 offset:6160
	;; [unrolled: 1-line block ×9, first 2 shown]
	s_waitcnt vmcnt(0) lgkmcnt(0)
	s_barrier
	v_cmp_ne_u32_e32 vcc, 0, v90
	v_mul_f64 v[1:2], v[56:57], v[8:9]
	v_mul_f64 v[8:9], v[54:55], v[8:9]
	;; [unrolled: 1-line block ×6, first 2 shown]
	v_fma_f64 v[1:2], v[54:55], v[6:7], v[1:2]
	v_fma_f64 v[5:6], v[56:57], v[6:7], -v[8:9]
	v_fma_f64 v[7:8], v[58:59], v[10:11], v[86:87]
	v_fma_f64 v[9:10], v[60:61], v[10:11], -v[12:13]
	;; [unrolled: 2-line block ×3, first 2 shown]
	v_mul_f64 v[15:16], v[104:105], v[20:21]
	v_mul_f64 v[20:21], v[102:103], v[20:21]
	;; [unrolled: 1-line block ×8, first 2 shown]
	v_fma_f64 v[15:16], v[102:103], v[18:19], v[15:16]
	v_fma_f64 v[17:18], v[104:105], v[18:19], -v[20:21]
	v_fma_f64 v[19:20], v[110:111], v[26:27], v[54:55]
	v_fma_f64 v[26:27], v[112:113], v[26:27], -v[28:29]
	;; [unrolled: 2-line block ×4, first 2 shown]
	v_mul_f64 v[23:24], v[80:81], v[36:37]
	v_mul_f64 v[32:33], v[78:79], v[36:37]
	;; [unrolled: 1-line block ×8, first 2 shown]
	v_fma_f64 v[60:61], v[78:79], v[34:35], v[23:24]
	v_fma_f64 v[32:33], v[80:81], v[34:35], -v[32:33]
	v_fma_f64 v[34:35], v[82:83], v[38:39], v[36:37]
	v_fma_f64 v[36:37], v[84:85], v[38:39], -v[40:41]
	;; [unrolled: 2-line block ×4, first 2 shown]
	v_mul_f64 v[23:24], v[124:125], v[52:53]
	v_mul_f64 v[46:47], v[122:123], v[52:53]
	v_add_f64 v[48:49], v[1:2], v[28:29]
	v_add_f64 v[52:53], v[5:6], v[21:22]
	v_add_f64 v[1:2], v[1:2], -v[28:29]
	v_add_f64 v[5:6], v[5:6], -v[21:22]
	v_add_f64 v[21:22], v[7:8], v[19:20]
	v_add_f64 v[28:29], v[9:10], v[26:27]
	v_add_f64 v[7:8], v[7:8], -v[19:20]
	v_add_f64 v[9:10], v[9:10], -v[26:27]
	v_add_f64 v[19:20], v[11:12], v[15:16]
	v_add_f64 v[25:26], v[13:14], v[17:18]
	v_add_f64 v[11:12], v[15:16], -v[11:12]
	v_add_f64 v[13:14], v[17:18], -v[13:14]
	v_add_f64 v[15:16], v[21:22], v[48:49]
	v_add_f64 v[17:18], v[28:29], v[52:53]
	v_add_f64 v[56:57], v[21:22], -v[48:49]
	v_add_f64 v[58:59], v[28:29], -v[52:53]
	v_add_f64 v[48:49], v[48:49], -v[19:20]
	v_add_f64 v[52:53], v[52:53], -v[25:26]
	v_add_f64 v[21:22], v[19:20], -v[21:22]
	v_add_f64 v[27:28], v[25:26], -v[28:29]
	v_add_f64 v[62:63], v[11:12], v[7:8]
	v_add_f64 v[64:65], v[13:14], v[9:10]
	v_add_f64 v[74:75], v[11:12], -v[7:8]
	v_add_f64 v[76:77], v[13:14], -v[9:10]
	v_add_f64 v[15:16], v[19:20], v[15:16]
	v_add_f64 v[17:18], v[25:26], v[17:18]
	v_add_f64 v[19:20], v[7:8], -v[1:2]
	v_add_f64 v[9:10], v[9:10], -v[5:6]
	;; [unrolled: 1-line block ×4, first 2 shown]
	v_add_f64 v[1:2], v[62:63], v[1:2]
	v_add_f64 v[25:26], v[64:65], v[5:6]
	v_add_f64 v[5:6], v[70:71], v[15:16]
	v_add_f64 v[7:8], v[72:73], v[17:18]
	v_mul_f64 v[48:49], v[48:49], s[6:7]
	v_mul_f64 v[52:53], v[52:53], s[6:7]
	;; [unrolled: 1-line block ×8, first 2 shown]
	v_fma_f64 v[15:16], v[15:16], s[16:17], v[5:6]
	v_fma_f64 v[17:18], v[17:18], s[16:17], v[7:8]
	;; [unrolled: 1-line block ×4, first 2 shown]
	v_fma_f64 v[62:63], v[56:57], s[18:19], -v[62:63]
	v_fma_f64 v[64:65], v[58:59], s[18:19], -v[64:65]
	;; [unrolled: 1-line block ×4, first 2 shown]
	v_fma_f64 v[56:57], v[11:12], s[22:23], v[70:71]
	v_fma_f64 v[58:59], v[13:14], s[22:23], v[72:73]
	v_fma_f64 v[19:20], v[19:20], s[8:9], -v[70:71]
	v_fma_f64 v[9:10], v[9:10], s[8:9], -v[72:73]
	v_fma_f64 v[11:12], v[11:12], s[26:27], -v[74:75]
	v_fma_f64 v[13:14], v[13:14], s[26:27], -v[76:77]
	v_add_f64 v[70:71], v[21:22], v[15:16]
	v_add_f64 v[72:73], v[27:28], v[17:18]
	;; [unrolled: 1-line block ×6, first 2 shown]
	v_fma_f64 v[58:59], v[25:26], s[24:25], v[58:59]
	v_fma_f64 v[56:57], v[1:2], s[24:25], v[56:57]
	;; [unrolled: 1-line block ×7, first 2 shown]
	v_fma_f64 v[46:47], v[124:125], v[50:51], -v[46:47]
	v_add_f64 v[9:10], v[58:59], v[70:71]
	v_add_f64 v[11:12], v[72:73], -v[56:57]
	v_add_f64 v[13:14], v[62:63], v[48:49]
	v_add_f64 v[15:16], v[52:53], -v[64:65]
	v_add_f64 v[17:18], v[21:22], -v[25:26]
	v_add_f64 v[19:20], v[1:2], v[27:28]
	v_add_f64 v[21:22], v[25:26], v[21:22]
	v_add_f64 v[23:24], v[27:28], -v[1:2]
	v_add_f64 v[25:26], v[48:49], -v[62:63]
	v_add_f64 v[27:28], v[64:65], v[52:53]
	v_add_f64 v[1:2], v[54:55], v[74:75]
	;; [unrolled: 1-line block ×3, first 2 shown]
	v_add_f64 v[29:30], v[30:31], -v[46:47]
	v_add_f64 v[46:47], v[60:61], v[42:43]
	v_add_f64 v[52:53], v[32:33], v[44:45]
	v_add_f64 v[50:51], v[54:55], -v[74:75]
	v_add_f64 v[42:43], v[60:61], -v[42:43]
	;; [unrolled: 1-line block ×3, first 2 shown]
	v_add_f64 v[44:45], v[34:35], v[38:39]
	v_add_f64 v[54:55], v[36:37], v[40:41]
	v_add_f64 v[33:34], v[38:39], -v[34:35]
	v_add_f64 v[35:36], v[40:41], -v[36:37]
	v_add_f64 v[37:38], v[46:47], v[1:2]
	v_add_f64 v[39:40], v[52:53], v[48:49]
	v_add_f64 v[60:61], v[46:47], -v[1:2]
	v_add_f64 v[62:63], v[52:53], -v[48:49]
	;; [unrolled: 1-line block ×6, first 2 shown]
	v_add_f64 v[64:65], v[33:34], v[42:43]
	v_add_f64 v[74:75], v[35:36], v[31:32]
	v_add_f64 v[76:77], v[33:34], -v[42:43]
	v_add_f64 v[78:79], v[35:36], -v[31:32]
	v_add_f64 v[37:38], v[44:45], v[37:38]
	v_add_f64 v[39:40], v[54:55], v[39:40]
	v_add_f64 v[41:42], v[42:43], -v[50:51]
	v_add_f64 v[43:44], v[31:32], -v[29:30]
	;; [unrolled: 1-line block ×4, first 2 shown]
	v_add_f64 v[50:51], v[64:65], v[50:51]
	v_add_f64 v[54:55], v[74:75], v[29:30]
	v_add_f64 v[29:30], v[66:67], v[37:38]
	v_add_f64 v[31:32], v[68:69], v[39:40]
	v_mul_f64 v[1:2], v[1:2], s[6:7]
	v_mul_f64 v[48:49], v[48:49], s[6:7]
	;; [unrolled: 1-line block ×8, first 2 shown]
	v_fma_f64 v[37:38], v[37:38], s[16:17], v[29:30]
	v_fma_f64 v[39:40], v[39:40], s[16:17], v[31:32]
	;; [unrolled: 1-line block ×4, first 2 shown]
	v_fma_f64 v[64:65], v[60:61], s[18:19], -v[64:65]
	v_fma_f64 v[66:67], v[62:63], s[18:19], -v[66:67]
	;; [unrolled: 1-line block ×4, first 2 shown]
	v_fma_f64 v[60:61], v[33:34], s[22:23], v[68:69]
	v_fma_f64 v[62:63], v[35:36], s[22:23], v[74:75]
	v_fma_f64 v[41:42], v[41:42], s[8:9], -v[68:69]
	v_fma_f64 v[43:44], v[43:44], s[8:9], -v[74:75]
	v_fma_f64 v[33:34], v[33:34], s[26:27], -v[76:77]
	v_fma_f64 v[35:36], v[35:36], s[26:27], -v[78:79]
	v_add_f64 v[68:69], v[45:46], v[37:38]
	v_add_f64 v[74:75], v[52:53], v[39:40]
	;; [unrolled: 1-line block ×6, first 2 shown]
	v_fma_f64 v[62:63], v[54:55], s[24:25], v[62:63]
	v_fma_f64 v[60:61], v[50:51], s[24:25], v[60:61]
	;; [unrolled: 1-line block ×6, first 2 shown]
	v_add_f64 v[33:34], v[70:71], -v[58:59]
	v_add_f64 v[35:36], v[56:57], v[72:73]
	v_add_f64 v[37:38], v[62:63], v[68:69]
	v_add_f64 v[39:40], v[74:75], -v[60:61]
	v_add_f64 v[41:42], v[76:77], v[1:2]
	v_add_f64 v[43:44], v[66:67], -v[78:79]
	v_add_f64 v[45:46], v[52:53], -v[54:55]
	v_add_f64 v[47:48], v[80:81], v[64:65]
	v_add_f64 v[49:50], v[54:55], v[52:53]
	v_add_f64 v[51:52], v[64:65], -v[80:81]
	v_add_f64 v[53:54], v[1:2], -v[76:77]
	v_add_f64 v[55:56], v[78:79], v[66:67]
	v_add_f64 v[57:58], v[68:69], -v[62:63]
	v_add_f64 v[59:60], v[60:61], v[74:75]
	ds_write_b128 v95, v[5:8]
	ds_write_b128 v95, v[9:12] offset:2464
	ds_write_b128 v95, v[13:16] offset:4928
	;; [unrolled: 1-line block ×6, first 2 shown]
	ds_write_b128 v0, v[29:32]
	ds_write_b128 v0, v[37:40] offset:2464
	ds_write_b128 v0, v[41:44] offset:4928
	;; [unrolled: 1-line block ×6, first 2 shown]
	s_waitcnt lgkmcnt(0)
	s_barrier
	ds_read_b128 v[0:3], v101
	s_add_u32 s6, s12, 0x4340
	s_addc_u32 s7, s13, 0
	v_sub_u32_e32 v11, v100, v91
                                        ; implicit-def: $vgpr9_vgpr10
                                        ; implicit-def: $vgpr7_vgpr8
                                        ; implicit-def: $vgpr5_vgpr6
	s_and_saveexec_b64 s[4:5], vcc
	s_xor_b64 s[4:5], exec, s[4:5]
	s_cbranch_execz .LBB0_18
; %bb.17:
	v_mov_b32_e32 v91, v4
	v_lshlrev_b64 v[4:5], 4, v[90:91]
	v_mov_b32_e32 v6, s7
	v_add_co_u32_e32 v4, vcc, s6, v4
	v_addc_co_u32_e32 v5, vcc, v6, v5, vcc
	global_load_dwordx4 v[4:7], v[4:5], off
	ds_read_b128 v[12:15], v11 offset:17248
	s_waitcnt lgkmcnt(0)
	v_add_f64 v[8:9], v[0:1], -v[12:13]
	v_add_f64 v[16:17], v[2:3], v[14:15]
	v_add_f64 v[2:3], v[2:3], -v[14:15]
	v_add_f64 v[0:1], v[0:1], v[12:13]
	v_mul_f64 v[8:9], v[8:9], 0.5
	v_mul_f64 v[14:15], v[16:17], 0.5
	;; [unrolled: 1-line block ×3, first 2 shown]
	s_waitcnt vmcnt(0)
	v_mul_f64 v[12:13], v[8:9], v[6:7]
	v_fma_f64 v[16:17], v[14:15], v[6:7], v[2:3]
	v_fma_f64 v[2:3], v[14:15], v[6:7], -v[2:3]
	v_fma_f64 v[6:7], v[0:1], 0.5, v[12:13]
	v_fma_f64 v[0:1], v[0:1], 0.5, -v[12:13]
	v_fma_f64 v[12:13], -v[4:5], v[8:9], v[16:17]
	v_fma_f64 v[2:3], -v[4:5], v[8:9], v[2:3]
	ds_write_b64 v101, v[12:13] offset:8
	ds_write_b64 v11, v[2:3] offset:17256
	v_fma_f64 v[7:8], v[14:15], v[4:5], v[6:7]
	v_fma_f64 v[9:10], -v[14:15], v[4:5], v[0:1]
	v_mov_b32_e32 v5, v90
	v_mov_b32_e32 v6, v91
                                        ; implicit-def: $vgpr0_vgpr1
.LBB0_18:
	s_andn2_saveexec_b64 s[4:5], s[4:5]
	s_cbranch_execz .LBB0_20
; %bb.19:
	s_mov_b32 s8, 0
	s_mov_b32 s9, s8
	v_mov_b32_e32 v4, s8
	s_waitcnt lgkmcnt(0)
	v_add_f64 v[7:8], v[0:1], v[2:3]
	v_mov_b32_e32 v5, s9
	v_add_f64 v[9:10], v[0:1], -v[2:3]
	ds_write_b64 v101, v[4:5] offset:8
	ds_write_b64 v11, v[4:5] offset:17256
	ds_read_b64 v[0:1], v100 offset:8632
	v_mov_b32_e32 v5, 0
	v_mov_b32_e32 v6, 0
	s_waitcnt lgkmcnt(0)
	v_xor_b32_e32 v1, 0x80000000, v1
	ds_write_b64 v100, v[0:1] offset:8632
.LBB0_20:
	s_or_b64 exec, exec, s[4:5]
	v_mov_b32_e32 v95, 0
	s_waitcnt lgkmcnt(0)
	v_lshlrev_b64 v[0:1], 4, v[94:95]
	v_mov_b32_e32 v2, s7
	v_add_co_u32_e32 v0, vcc, s6, v0
	v_addc_co_u32_e32 v1, vcc, v2, v1, vcc
	global_load_dwordx4 v[0:3], v[0:1], off
	v_mov_b32_e32 v99, v95
	v_lshlrev_b64 v[12:13], 4, v[98:99]
	v_mov_b32_e32 v4, s7
	v_add_co_u32_e32 v12, vcc, s6, v12
	v_addc_co_u32_e32 v13, vcc, v4, v13, vcc
	global_load_dwordx4 v[12:15], v[12:13], off
	ds_write_b64 v101, v[7:8]
	ds_write_b64 v11, v[9:10] offset:17248
	v_lshl_add_u32 v28, v94, 4, v100
	ds_read_b128 v[7:10], v28
	ds_read_b128 v[16:19], v11 offset:16016
	v_lshlrev_b64 v[4:5], 4, v[5:6]
	v_mov_b32_e32 v27, s7
	v_add_co_u32_e32 v26, vcc, s6, v4
	s_waitcnt lgkmcnt(0)
	v_add_f64 v[20:21], v[7:8], -v[16:17]
	v_add_f64 v[22:23], v[9:10], v[18:19]
	v_add_f64 v[9:10], v[9:10], -v[18:19]
	v_add_f64 v[7:8], v[7:8], v[16:17]
	v_addc_co_u32_e32 v27, vcc, v27, v5, vcc
	s_movk_i32 s4, 0x1000
	v_mul_f64 v[18:19], v[20:21], 0.5
	v_mul_f64 v[20:21], v[22:23], 0.5
	;; [unrolled: 1-line block ×3, first 2 shown]
	s_waitcnt vmcnt(1)
	v_mul_f64 v[16:17], v[18:19], v[2:3]
	v_fma_f64 v[22:23], v[20:21], v[2:3], v[9:10]
	v_fma_f64 v[9:10], v[20:21], v[2:3], -v[9:10]
	global_load_dwordx4 v[2:5], v[26:27], off offset:3696
	v_fma_f64 v[24:25], v[7:8], 0.5, v[16:17]
	v_fma_f64 v[6:7], v[7:8], 0.5, -v[16:17]
	v_fma_f64 v[16:17], -v[0:1], v[18:19], v[22:23]
	v_fma_f64 v[8:9], -v[0:1], v[18:19], v[9:10]
	v_lshl_add_u32 v10, v98, 4, v100
	v_mov_b32_e32 v98, v95
	v_fma_f64 v[18:19], v[20:21], v[0:1], v[24:25]
	v_fma_f64 v[6:7], -v[20:21], v[0:1], v[6:7]
	ds_write2_b64 v28, v[18:19], v[16:17] offset1:1
	ds_write_b128 v11, v[6:9] offset:16016
	ds_read_b128 v[6:9], v10
	ds_read_b128 v[16:19], v11 offset:14784
	v_mov_b32_e32 v28, s7
	s_waitcnt lgkmcnt(0)
	v_add_f64 v[0:1], v[6:7], -v[16:17]
	v_add_f64 v[20:21], v[8:9], v[18:19]
	v_add_f64 v[8:9], v[8:9], -v[18:19]
	v_add_f64 v[6:7], v[6:7], v[16:17]
	v_mul_f64 v[0:1], v[0:1], 0.5
	v_mul_f64 v[18:19], v[20:21], 0.5
	;; [unrolled: 1-line block ×3, first 2 shown]
	v_lshlrev_b64 v[20:21], 4, v[97:98]
	s_waitcnt vmcnt(1)
	v_mul_f64 v[16:17], v[0:1], v[14:15]
	v_fma_f64 v[22:23], v[18:19], v[14:15], v[8:9]
	v_fma_f64 v[14:15], v[18:19], v[14:15], -v[8:9]
	v_fma_f64 v[24:25], v[6:7], 0.5, v[16:17]
	v_fma_f64 v[16:17], v[6:7], 0.5, -v[16:17]
	v_add_co_u32_e32 v6, vcc, s6, v20
	v_addc_co_u32_e32 v7, vcc, v28, v21, vcc
	global_load_dwordx4 v[6:9], v[6:7], off
	v_fma_f64 v[20:21], -v[12:13], v[0:1], v[22:23]
	v_fma_f64 v[14:15], -v[12:13], v[0:1], v[14:15]
	v_fma_f64 v[0:1], v[18:19], v[12:13], v[24:25]
	v_fma_f64 v[12:13], -v[18:19], v[12:13], v[16:17]
	ds_write2_b64 v10, v[0:1], v[20:21] offset1:1
	ds_write_b128 v11, v[12:15] offset:14784
	ds_read_b128 v[12:15], v101 offset:3696
	ds_read_b128 v[16:19], v11 offset:13552
	v_add_u32_e32 v10, 0x800, v101
	s_waitcnt lgkmcnt(0)
	v_add_f64 v[0:1], v[12:13], -v[16:17]
	v_add_f64 v[20:21], v[14:15], v[18:19]
	v_add_f64 v[14:15], v[14:15], -v[18:19]
	v_add_f64 v[12:13], v[12:13], v[16:17]
	v_mul_f64 v[0:1], v[0:1], 0.5
	v_mul_f64 v[18:19], v[20:21], 0.5
	;; [unrolled: 1-line block ×3, first 2 shown]
	s_waitcnt vmcnt(1)
	v_mul_f64 v[16:17], v[0:1], v[4:5]
	v_fma_f64 v[20:21], v[18:19], v[4:5], v[14:15]
	v_fma_f64 v[4:5], v[18:19], v[4:5], -v[14:15]
	v_fma_f64 v[22:23], v[12:13], 0.5, v[16:17]
	v_fma_f64 v[16:17], v[12:13], 0.5, -v[16:17]
	v_add_co_u32_e32 v12, vcc, s4, v26
	v_addc_co_u32_e32 v13, vcc, 0, v27, vcc
	global_load_dwordx4 v[12:15], v[12:13], off offset:2064
	v_fma_f64 v[20:21], -v[2:3], v[0:1], v[20:21]
	v_fma_f64 v[4:5], -v[2:3], v[0:1], v[4:5]
	v_fma_f64 v[0:1], v[18:19], v[2:3], v[22:23]
	v_fma_f64 v[2:3], -v[18:19], v[2:3], v[16:17]
	v_lshl_add_u32 v26, v97, 4, v100
	v_mov_b32_e32 v97, v95
	ds_write2_b64 v10, v[0:1], v[20:21] offset0:206 offset1:207
	ds_write_b128 v11, v[2:5] offset:13552
	ds_read_b128 v[0:3], v26
	ds_read_b128 v[16:19], v11 offset:12320
	v_mov_b32_e32 v10, s7
	s_waitcnt lgkmcnt(0)
	v_add_f64 v[4:5], v[0:1], -v[16:17]
	v_add_f64 v[20:21], v[2:3], v[18:19]
	v_add_f64 v[2:3], v[2:3], -v[18:19]
	v_add_f64 v[0:1], v[0:1], v[16:17]
	v_mul_f64 v[4:5], v[4:5], 0.5
	v_mul_f64 v[18:19], v[20:21], 0.5
	;; [unrolled: 1-line block ×3, first 2 shown]
	v_lshlrev_b64 v[20:21], 4, v[96:97]
	s_waitcnt vmcnt(1)
	v_mul_f64 v[16:17], v[4:5], v[8:9]
	v_fma_f64 v[22:23], v[18:19], v[8:9], v[2:3]
	v_fma_f64 v[8:9], v[18:19], v[8:9], -v[2:3]
	v_fma_f64 v[24:25], v[0:1], 0.5, v[16:17]
	v_fma_f64 v[16:17], v[0:1], 0.5, -v[16:17]
	v_add_co_u32_e32 v0, vcc, s6, v20
	v_addc_co_u32_e32 v1, vcc, v10, v21, vcc
	global_load_dwordx4 v[0:3], v[0:1], off
	v_fma_f64 v[20:21], -v[6:7], v[4:5], v[22:23]
	v_fma_f64 v[8:9], -v[6:7], v[4:5], v[8:9]
	v_fma_f64 v[4:5], v[18:19], v[6:7], v[24:25]
	v_fma_f64 v[6:7], -v[18:19], v[6:7], v[16:17]
	v_add_u32_e32 v10, 0x1800, v101
	ds_write2_b64 v26, v[4:5], v[20:21] offset1:1
	ds_write_b128 v11, v[6:9] offset:12320
	ds_read_b128 v[4:7], v101 offset:6160
	ds_read_b128 v[16:19], v11 offset:11088
	s_waitcnt lgkmcnt(0)
	v_add_f64 v[8:9], v[4:5], -v[16:17]
	v_add_f64 v[20:21], v[6:7], v[18:19]
	v_add_f64 v[6:7], v[6:7], -v[18:19]
	v_add_f64 v[4:5], v[4:5], v[16:17]
	v_mul_f64 v[8:9], v[8:9], 0.5
	v_mul_f64 v[18:19], v[20:21], 0.5
	;; [unrolled: 1-line block ×3, first 2 shown]
	s_waitcnt vmcnt(1)
	v_mul_f64 v[16:17], v[8:9], v[14:15]
	v_fma_f64 v[20:21], v[18:19], v[14:15], v[6:7]
	v_fma_f64 v[6:7], v[18:19], v[14:15], -v[6:7]
	v_fma_f64 v[14:15], v[4:5], 0.5, v[16:17]
	v_fma_f64 v[4:5], v[4:5], 0.5, -v[16:17]
	v_fma_f64 v[16:17], -v[12:13], v[8:9], v[20:21]
	v_fma_f64 v[6:7], -v[12:13], v[8:9], v[6:7]
	v_fma_f64 v[8:9], v[18:19], v[12:13], v[14:15]
	v_fma_f64 v[4:5], -v[18:19], v[12:13], v[4:5]
	v_lshl_add_u32 v18, v96, 4, v100
	ds_write2_b64 v10, v[8:9], v[16:17] offset0:2 offset1:3
	ds_write_b128 v11, v[4:7] offset:11088
	ds_read_b128 v[4:7], v18
	ds_read_b128 v[12:15], v11 offset:9856
	s_waitcnt lgkmcnt(0)
	v_add_f64 v[8:9], v[4:5], -v[12:13]
	v_add_f64 v[16:17], v[6:7], v[14:15]
	v_add_f64 v[6:7], v[6:7], -v[14:15]
	v_add_f64 v[4:5], v[4:5], v[12:13]
	v_mul_f64 v[8:9], v[8:9], 0.5
	v_mul_f64 v[14:15], v[16:17], 0.5
	;; [unrolled: 1-line block ×3, first 2 shown]
	s_waitcnt vmcnt(0)
	v_mul_f64 v[12:13], v[8:9], v[2:3]
	v_fma_f64 v[16:17], v[14:15], v[2:3], v[6:7]
	v_fma_f64 v[2:3], v[14:15], v[2:3], -v[6:7]
	v_fma_f64 v[6:7], v[4:5], 0.5, v[12:13]
	v_fma_f64 v[4:5], v[4:5], 0.5, -v[12:13]
	v_fma_f64 v[12:13], -v[0:1], v[8:9], v[16:17]
	v_fma_f64 v[2:3], -v[0:1], v[8:9], v[2:3]
	v_fma_f64 v[6:7], v[14:15], v[0:1], v[6:7]
	v_fma_f64 v[0:1], -v[14:15], v[0:1], v[4:5]
	ds_write2_b64 v18, v[6:7], v[12:13] offset1:1
	ds_write_b128 v11, v[0:3] offset:9856
	s_waitcnt lgkmcnt(0)
	s_barrier
	s_and_saveexec_b64 s[4:5], s[0:1]
	s_cbranch_execz .LBB0_23
; %bb.21:
	v_mul_lo_u32 v0, s3, v92
	v_mul_lo_u32 v3, s2, v93
	v_mad_u64_u32 v[1:2], s[0:1], s2, v92, 0
	v_mov_b32_e32 v7, s11
	v_mov_b32_e32 v91, v95
	v_add3_u32 v2, v2, v3, v0
	v_lshlrev_b64 v[1:2], 4, v[1:2]
	v_lshl_add_u32 v0, v90, 4, v100
	v_add_co_u32_e32 v1, vcc, s10, v1
	v_addc_co_u32_e32 v9, vcc, v7, v2, vcc
	v_lshlrev_b64 v[7:8], 4, v[88:89]
	ds_read_b128 v[3:6], v0
	v_add_co_u32_e32 v2, vcc, v1, v7
	v_addc_co_u32_e32 v1, vcc, v9, v8, vcc
	v_lshlrev_b64 v[7:8], 4, v[90:91]
	v_add_u32_e32 v94, 0x4d, v90
	v_add_co_u32_e32 v11, vcc, v2, v7
	v_addc_co_u32_e32 v12, vcc, v1, v8, vcc
	ds_read_b128 v[7:10], v0 offset:1232
	s_waitcnt lgkmcnt(1)
	global_store_dwordx4 v[11:12], v[3:6], off
	s_movk_i32 s0, 0x4c
	v_lshlrev_b64 v[3:4], 4, v[94:95]
	v_add_u32_e32 v94, 0x9a, v90
	v_add_co_u32_e32 v3, vcc, v2, v3
	v_addc_co_u32_e32 v4, vcc, v1, v4, vcc
	s_waitcnt lgkmcnt(0)
	global_store_dwordx4 v[3:4], v[7:10], off
	ds_read_b128 v[3:6], v0 offset:2464
	v_lshlrev_b64 v[7:8], 4, v[94:95]
	v_add_u32_e32 v94, 0xe7, v90
	v_add_co_u32_e32 v11, vcc, v2, v7
	v_addc_co_u32_e32 v12, vcc, v1, v8, vcc
	ds_read_b128 v[7:10], v0 offset:3696
	s_waitcnt lgkmcnt(1)
	global_store_dwordx4 v[11:12], v[3:6], off
	s_nop 0
	v_lshlrev_b64 v[3:4], 4, v[94:95]
	v_add_u32_e32 v94, 0x134, v90
	v_add_co_u32_e32 v3, vcc, v2, v3
	v_addc_co_u32_e32 v4, vcc, v1, v4, vcc
	s_waitcnt lgkmcnt(0)
	global_store_dwordx4 v[3:4], v[7:10], off
	ds_read_b128 v[3:6], v0 offset:4928
	v_lshlrev_b64 v[7:8], 4, v[94:95]
	v_add_u32_e32 v94, 0x181, v90
	v_add_co_u32_e32 v11, vcc, v2, v7
	v_addc_co_u32_e32 v12, vcc, v1, v8, vcc
	ds_read_b128 v[7:10], v0 offset:6160
	s_waitcnt lgkmcnt(1)
	global_store_dwordx4 v[11:12], v[3:6], off
	s_nop 0
	;; [unrolled: 15-line block ×6, first 2 shown]
	v_lshlrev_b64 v[3:4], 4, v[94:95]
	v_add_co_u32_e32 v3, vcc, v2, v3
	v_addc_co_u32_e32 v4, vcc, v1, v4, vcc
	v_cmp_eq_u32_e32 vcc, s0, v90
	s_waitcnt lgkmcnt(0)
	global_store_dwordx4 v[3:4], v[7:10], off
	s_and_b64 exec, exec, vcc
	s_cbranch_execz .LBB0_23
; %bb.22:
	ds_read_b128 v[3:6], v0 offset:16032
	v_add_co_u32_e32 v0, vcc, 0x4000, v2
	v_addc_co_u32_e32 v1, vcc, 0, v1, vcc
	s_waitcnt lgkmcnt(0)
	global_store_dwordx4 v[0:1], v[3:6], off offset:864
.LBB0_23:
	s_endpgm
	.section	.rodata,"a",@progbits
	.p2align	6, 0x0
	.amdhsa_kernel fft_rtc_back_len1078_factors_2_11_7_7_wgs_231_tpt_77_halfLds_dp_op_CI_CI_unitstride_sbrr_R2C_dirReg
		.amdhsa_group_segment_fixed_size 0
		.amdhsa_private_segment_fixed_size 0
		.amdhsa_kernarg_size 104
		.amdhsa_user_sgpr_count 6
		.amdhsa_user_sgpr_private_segment_buffer 1
		.amdhsa_user_sgpr_dispatch_ptr 0
		.amdhsa_user_sgpr_queue_ptr 0
		.amdhsa_user_sgpr_kernarg_segment_ptr 1
		.amdhsa_user_sgpr_dispatch_id 0
		.amdhsa_user_sgpr_flat_scratch_init 0
		.amdhsa_user_sgpr_private_segment_size 0
		.amdhsa_uses_dynamic_stack 0
		.amdhsa_system_sgpr_private_segment_wavefront_offset 0
		.amdhsa_system_sgpr_workgroup_id_x 1
		.amdhsa_system_sgpr_workgroup_id_y 0
		.amdhsa_system_sgpr_workgroup_id_z 0
		.amdhsa_system_sgpr_workgroup_info 0
		.amdhsa_system_vgpr_workitem_id 0
		.amdhsa_next_free_vgpr 179
		.amdhsa_next_free_sgpr 40
		.amdhsa_reserve_vcc 1
		.amdhsa_reserve_flat_scratch 0
		.amdhsa_float_round_mode_32 0
		.amdhsa_float_round_mode_16_64 0
		.amdhsa_float_denorm_mode_32 3
		.amdhsa_float_denorm_mode_16_64 3
		.amdhsa_dx10_clamp 1
		.amdhsa_ieee_mode 1
		.amdhsa_fp16_overflow 0
		.amdhsa_exception_fp_ieee_invalid_op 0
		.amdhsa_exception_fp_denorm_src 0
		.amdhsa_exception_fp_ieee_div_zero 0
		.amdhsa_exception_fp_ieee_overflow 0
		.amdhsa_exception_fp_ieee_underflow 0
		.amdhsa_exception_fp_ieee_inexact 0
		.amdhsa_exception_int_div_zero 0
	.end_amdhsa_kernel
	.text
.Lfunc_end0:
	.size	fft_rtc_back_len1078_factors_2_11_7_7_wgs_231_tpt_77_halfLds_dp_op_CI_CI_unitstride_sbrr_R2C_dirReg, .Lfunc_end0-fft_rtc_back_len1078_factors_2_11_7_7_wgs_231_tpt_77_halfLds_dp_op_CI_CI_unitstride_sbrr_R2C_dirReg
                                        ; -- End function
	.section	.AMDGPU.csdata,"",@progbits
; Kernel info:
; codeLenInByte = 15224
; NumSgprs: 44
; NumVgprs: 179
; ScratchSize: 0
; MemoryBound: 0
; FloatMode: 240
; IeeeMode: 1
; LDSByteSize: 0 bytes/workgroup (compile time only)
; SGPRBlocks: 5
; VGPRBlocks: 44
; NumSGPRsForWavesPerEU: 44
; NumVGPRsForWavesPerEU: 179
; Occupancy: 1
; WaveLimiterHint : 1
; COMPUTE_PGM_RSRC2:SCRATCH_EN: 0
; COMPUTE_PGM_RSRC2:USER_SGPR: 6
; COMPUTE_PGM_RSRC2:TRAP_HANDLER: 0
; COMPUTE_PGM_RSRC2:TGID_X_EN: 1
; COMPUTE_PGM_RSRC2:TGID_Y_EN: 0
; COMPUTE_PGM_RSRC2:TGID_Z_EN: 0
; COMPUTE_PGM_RSRC2:TIDIG_COMP_CNT: 0
	.type	__hip_cuid_37242b219c3976a1,@object ; @__hip_cuid_37242b219c3976a1
	.section	.bss,"aw",@nobits
	.globl	__hip_cuid_37242b219c3976a1
__hip_cuid_37242b219c3976a1:
	.byte	0                               ; 0x0
	.size	__hip_cuid_37242b219c3976a1, 1

	.ident	"AMD clang version 19.0.0git (https://github.com/RadeonOpenCompute/llvm-project roc-6.4.0 25133 c7fe45cf4b819c5991fe208aaa96edf142730f1d)"
	.section	".note.GNU-stack","",@progbits
	.addrsig
	.addrsig_sym __hip_cuid_37242b219c3976a1
	.amdgpu_metadata
---
amdhsa.kernels:
  - .args:
      - .actual_access:  read_only
        .address_space:  global
        .offset:         0
        .size:           8
        .value_kind:     global_buffer
      - .offset:         8
        .size:           8
        .value_kind:     by_value
      - .actual_access:  read_only
        .address_space:  global
        .offset:         16
        .size:           8
        .value_kind:     global_buffer
      - .actual_access:  read_only
        .address_space:  global
        .offset:         24
        .size:           8
        .value_kind:     global_buffer
      - .actual_access:  read_only
        .address_space:  global
        .offset:         32
        .size:           8
        .value_kind:     global_buffer
      - .offset:         40
        .size:           8
        .value_kind:     by_value
      - .actual_access:  read_only
        .address_space:  global
        .offset:         48
        .size:           8
        .value_kind:     global_buffer
      - .actual_access:  read_only
        .address_space:  global
        .offset:         56
        .size:           8
        .value_kind:     global_buffer
      - .offset:         64
        .size:           4
        .value_kind:     by_value
      - .actual_access:  read_only
        .address_space:  global
        .offset:         72
        .size:           8
        .value_kind:     global_buffer
      - .actual_access:  read_only
        .address_space:  global
        .offset:         80
        .size:           8
        .value_kind:     global_buffer
      - .actual_access:  read_only
        .address_space:  global
        .offset:         88
        .size:           8
        .value_kind:     global_buffer
      - .actual_access:  write_only
        .address_space:  global
        .offset:         96
        .size:           8
        .value_kind:     global_buffer
    .group_segment_fixed_size: 0
    .kernarg_segment_align: 8
    .kernarg_segment_size: 104
    .language:       OpenCL C
    .language_version:
      - 2
      - 0
    .max_flat_workgroup_size: 231
    .name:           fft_rtc_back_len1078_factors_2_11_7_7_wgs_231_tpt_77_halfLds_dp_op_CI_CI_unitstride_sbrr_R2C_dirReg
    .private_segment_fixed_size: 0
    .sgpr_count:     44
    .sgpr_spill_count: 0
    .symbol:         fft_rtc_back_len1078_factors_2_11_7_7_wgs_231_tpt_77_halfLds_dp_op_CI_CI_unitstride_sbrr_R2C_dirReg.kd
    .uniform_work_group_size: 1
    .uses_dynamic_stack: false
    .vgpr_count:     179
    .vgpr_spill_count: 0
    .wavefront_size: 64
amdhsa.target:   amdgcn-amd-amdhsa--gfx906
amdhsa.version:
  - 1
  - 2
...

	.end_amdgpu_metadata
